;; amdgpu-corpus repo=ROCm/rocSOLVER kind=compiled arch=gfx1201 opt=O3
	.amdgcn_target "amdgcn-amd-amdhsa--gfx1201"
	.amdhsa_code_object_version 6
	.section	.text._ZN9rocsolver6v33100L10reset_infoIiiiEEvPT_T0_T1_S4_,"axG",@progbits,_ZN9rocsolver6v33100L10reset_infoIiiiEEvPT_T0_T1_S4_,comdat
	.globl	_ZN9rocsolver6v33100L10reset_infoIiiiEEvPT_T0_T1_S4_ ; -- Begin function _ZN9rocsolver6v33100L10reset_infoIiiiEEvPT_T0_T1_S4_
	.p2align	8
	.type	_ZN9rocsolver6v33100L10reset_infoIiiiEEvPT_T0_T1_S4_,@function
_ZN9rocsolver6v33100L10reset_infoIiiiEEvPT_T0_T1_S4_: ; @_ZN9rocsolver6v33100L10reset_infoIiiiEEvPT_T0_T1_S4_
; %bb.0:
	s_clause 0x1
	s_load_b32 s2, s[0:1], 0x24
	s_load_b96 s[4:6], s[0:1], 0x8
	s_wait_kmcnt 0x0
	s_and_b32 s2, s2, 0xffff
	s_delay_alu instid0(SALU_CYCLE_1)
	v_mad_co_u64_u32 v[0:1], null, ttmp9, s2, v[0:1]
	s_mov_b32 s2, exec_lo
	v_cmpx_gt_i32_e64 s4, v0
	s_cbranch_execz .LBB0_2
; %bb.1:
	s_load_b64 s[0:1], s[0:1], 0x0
	v_ashrrev_i32_e32 v1, 31, v0
	s_mov_b32 s2, s5
	s_wait_alu 0xfffe
	v_mad_co_u64_u32 v[3:4], null, v0, s6, s[2:3]
	s_delay_alu instid0(VALU_DEP_2) | instskip(SKIP_1) | instid1(VALU_DEP_1)
	v_lshlrev_b64_e32 v[1:2], 2, v[0:1]
	s_wait_kmcnt 0x0
	v_add_co_u32 v0, vcc_lo, s0, v1
	s_delay_alu instid0(VALU_DEP_1)
	v_add_co_ci_u32_e64 v1, null, s1, v2, vcc_lo
	global_store_b32 v[0:1], v3, off
.LBB0_2:
	s_endpgm
	.section	.rodata,"a",@progbits
	.p2align	6, 0x0
	.amdhsa_kernel _ZN9rocsolver6v33100L10reset_infoIiiiEEvPT_T0_T1_S4_
		.amdhsa_group_segment_fixed_size 0
		.amdhsa_private_segment_fixed_size 0
		.amdhsa_kernarg_size 280
		.amdhsa_user_sgpr_count 2
		.amdhsa_user_sgpr_dispatch_ptr 0
		.amdhsa_user_sgpr_queue_ptr 0
		.amdhsa_user_sgpr_kernarg_segment_ptr 1
		.amdhsa_user_sgpr_dispatch_id 0
		.amdhsa_user_sgpr_private_segment_size 0
		.amdhsa_wavefront_size32 1
		.amdhsa_uses_dynamic_stack 0
		.amdhsa_enable_private_segment 0
		.amdhsa_system_sgpr_workgroup_id_x 1
		.amdhsa_system_sgpr_workgroup_id_y 0
		.amdhsa_system_sgpr_workgroup_id_z 0
		.amdhsa_system_sgpr_workgroup_info 0
		.amdhsa_system_vgpr_workitem_id 0
		.amdhsa_next_free_vgpr 5
		.amdhsa_next_free_sgpr 7
		.amdhsa_reserve_vcc 1
		.amdhsa_float_round_mode_32 0
		.amdhsa_float_round_mode_16_64 0
		.amdhsa_float_denorm_mode_32 3
		.amdhsa_float_denorm_mode_16_64 3
		.amdhsa_fp16_overflow 0
		.amdhsa_workgroup_processor_mode 1
		.amdhsa_memory_ordered 1
		.amdhsa_forward_progress 1
		.amdhsa_inst_pref_size 2
		.amdhsa_round_robin_scheduling 0
		.amdhsa_exception_fp_ieee_invalid_op 0
		.amdhsa_exception_fp_denorm_src 0
		.amdhsa_exception_fp_ieee_div_zero 0
		.amdhsa_exception_fp_ieee_overflow 0
		.amdhsa_exception_fp_ieee_underflow 0
		.amdhsa_exception_fp_ieee_inexact 0
		.amdhsa_exception_int_div_zero 0
	.end_amdhsa_kernel
	.section	.text._ZN9rocsolver6v33100L10reset_infoIiiiEEvPT_T0_T1_S4_,"axG",@progbits,_ZN9rocsolver6v33100L10reset_infoIiiiEEvPT_T0_T1_S4_,comdat
.Lfunc_end0:
	.size	_ZN9rocsolver6v33100L10reset_infoIiiiEEvPT_T0_T1_S4_, .Lfunc_end0-_ZN9rocsolver6v33100L10reset_infoIiiiEEvPT_T0_T1_S4_
                                        ; -- End function
	.set _ZN9rocsolver6v33100L10reset_infoIiiiEEvPT_T0_T1_S4_.num_vgpr, 5
	.set _ZN9rocsolver6v33100L10reset_infoIiiiEEvPT_T0_T1_S4_.num_agpr, 0
	.set _ZN9rocsolver6v33100L10reset_infoIiiiEEvPT_T0_T1_S4_.numbered_sgpr, 7
	.set _ZN9rocsolver6v33100L10reset_infoIiiiEEvPT_T0_T1_S4_.num_named_barrier, 0
	.set _ZN9rocsolver6v33100L10reset_infoIiiiEEvPT_T0_T1_S4_.private_seg_size, 0
	.set _ZN9rocsolver6v33100L10reset_infoIiiiEEvPT_T0_T1_S4_.uses_vcc, 1
	.set _ZN9rocsolver6v33100L10reset_infoIiiiEEvPT_T0_T1_S4_.uses_flat_scratch, 0
	.set _ZN9rocsolver6v33100L10reset_infoIiiiEEvPT_T0_T1_S4_.has_dyn_sized_stack, 0
	.set _ZN9rocsolver6v33100L10reset_infoIiiiEEvPT_T0_T1_S4_.has_recursion, 0
	.set _ZN9rocsolver6v33100L10reset_infoIiiiEEvPT_T0_T1_S4_.has_indirect_call, 0
	.section	.AMDGPU.csdata,"",@progbits
; Kernel info:
; codeLenInByte = 136
; TotalNumSgprs: 9
; NumVgprs: 5
; ScratchSize: 0
; MemoryBound: 0
; FloatMode: 240
; IeeeMode: 1
; LDSByteSize: 0 bytes/workgroup (compile time only)
; SGPRBlocks: 0
; VGPRBlocks: 0
; NumSGPRsForWavesPerEU: 9
; NumVGPRsForWavesPerEU: 5
; Occupancy: 16
; WaveLimiterHint : 0
; COMPUTE_PGM_RSRC2:SCRATCH_EN: 0
; COMPUTE_PGM_RSRC2:USER_SGPR: 2
; COMPUTE_PGM_RSRC2:TRAP_HANDLER: 0
; COMPUTE_PGM_RSRC2:TGID_X_EN: 1
; COMPUTE_PGM_RSRC2:TGID_Y_EN: 0
; COMPUTE_PGM_RSRC2:TGID_Z_EN: 0
; COMPUTE_PGM_RSRC2:TIDIG_COMP_CNT: 0
	.section	.text._ZN9rocsolver6v33100L18stebz_case1_kernelIfPfEEv15rocblas_erange_T_S4_T0_ilPiS6_PS4_lS6_lS6_li,"axG",@progbits,_ZN9rocsolver6v33100L18stebz_case1_kernelIfPfEEv15rocblas_erange_T_S4_T0_ilPiS6_PS4_lS6_lS6_li,comdat
	.globl	_ZN9rocsolver6v33100L18stebz_case1_kernelIfPfEEv15rocblas_erange_T_S4_T0_ilPiS6_PS4_lS6_lS6_li ; -- Begin function _ZN9rocsolver6v33100L18stebz_case1_kernelIfPfEEv15rocblas_erange_T_S4_T0_ilPiS6_PS4_lS6_lS6_li
	.p2align	8
	.type	_ZN9rocsolver6v33100L18stebz_case1_kernelIfPfEEv15rocblas_erange_T_S4_T0_ilPiS6_PS4_lS6_lS6_li,@function
_ZN9rocsolver6v33100L18stebz_case1_kernelIfPfEEv15rocblas_erange_T_S4_T0_ilPiS6_PS4_lS6_lS6_li: ; @_ZN9rocsolver6v33100L18stebz_case1_kernelIfPfEEv15rocblas_erange_T_S4_T0_ilPiS6_PS4_lS6_lS6_li
; %bb.0:
	s_clause 0x1
	s_load_b32 s2, s[0:1], 0x7c
	s_load_b32 s3, s[0:1], 0x68
	s_wait_kmcnt 0x0
	s_and_b32 s2, s2, 0xffff
	s_delay_alu instid0(SALU_CYCLE_1)
	v_mad_co_u64_u32 v[0:1], null, ttmp9, s2, v[0:1]
	s_mov_b32 s2, exec_lo
	v_cmpx_gt_i32_e64 s3, v0
	s_cbranch_execz .LBB1_7
; %bb.1:
	s_load_b512 s[4:19], s[0:1], 0x20
	v_ashrrev_i32_e32 v1, 31, v0
	s_load_b96 s[20:22], s[0:1], 0x10
	v_mov_b32_e32 v9, 1
	s_wait_kmcnt 0x0
	v_mul_lo_u32 v4, s5, v0
	v_mul_lo_u32 v5, s4, v1
	v_mad_co_u64_u32 v[2:3], null, s4, v0, 0
	s_ashr_i32 s3, s22, 31
	s_mov_b32 s2, s22
	s_wait_alu 0xfffe
	s_lshl_b64 s[2:3], s[2:3], 2
	v_add3_u32 v3, v3, v5, v4
	s_delay_alu instid0(VALU_DEP_1) | instskip(NEXT) | instid1(VALU_DEP_1)
	v_lshlrev_b64_e32 v[2:3], 2, v[2:3]
	v_add_co_u32 v2, vcc_lo, s20, v2
	s_delay_alu instid0(VALU_DEP_1) | instskip(SKIP_1) | instid1(VALU_DEP_2)
	v_add_co_ci_u32_e64 v3, null, s21, v3, vcc_lo
	s_wait_alu 0xfffe
	v_add_co_u32 v2, vcc_lo, v2, s2
	s_wait_alu 0xfffd
	s_delay_alu instid0(VALU_DEP_2)
	v_add_co_ci_u32_e64 v3, null, s3, v3, vcc_lo
	s_load_b64 s[2:3], s[0:1], 0x60
	global_load_b32 v4, v[2:3], off
	s_wait_kmcnt 0x0
	v_mul_lo_u32 v2, s3, v0
	v_mul_lo_u32 v3, s2, v1
	v_mad_co_u64_u32 v[5:6], null, s2, v0, 0
	s_load_b96 s[0:2], s[0:1], 0x0
	v_add3_u32 v6, v6, v3, v2
	v_lshlrev_b64_e32 v[2:3], 2, v[0:1]
	s_delay_alu instid0(VALU_DEP_2) | instskip(NEXT) | instid1(VALU_DEP_2)
	v_lshlrev_b64_e32 v[5:6], 2, v[5:6]
	v_add_co_u32 v7, vcc_lo, s8, v2
	s_wait_alu 0xfffd
	s_delay_alu instid0(VALU_DEP_3) | instskip(NEXT) | instid1(VALU_DEP_3)
	v_add_co_ci_u32_e64 v8, null, s9, v3, vcc_lo
	v_add_co_u32 v5, vcc_lo, s18, v5
	s_wait_alu 0xfffd
	v_add_co_ci_u32_e64 v6, null, s19, v6, vcc_lo
	s_wait_kmcnt 0x0
	s_cmp_lg_u32 s0, 0xe8
	global_store_b32 v[7:8], v9, off
	s_cselect_b32 s3, -1, 0
	global_store_b32 v[5:6], v9, off
	s_wait_alu 0xfffe
	s_and_b32 vcc_lo, exec_lo, s3
	s_wait_alu 0xfffe
	s_cbranch_vccnz .LBB1_3
; %bb.2:
	s_wait_loadcnt 0x0
	v_cmp_nge_f32_e32 vcc_lo, s1, v4
	v_cmp_nlt_f32_e64 s0, s2, v4
	s_and_not1_b32 s1, s3, exec_lo
	s_and_b32 s0, vcc_lo, s0
	s_wait_alu 0xfffe
	s_and_b32 s2, s0, exec_lo
	s_mov_b32 s0, -1
	s_wait_alu 0xfffe
	s_or_b32 s3, s1, s2
	s_wait_alu 0xfffe
	s_and_saveexec_b32 s1, s3
	s_wait_alu 0xfffe
	s_xor_b32 s1, exec_lo, s1
	s_cbranch_execnz .LBB1_4
	s_branch .LBB1_5
.LBB1_3:
	s_mov_b32 s0, 0
	s_and_saveexec_b32 s1, s3
	s_wait_alu 0xfffe
	s_xor_b32 s1, exec_lo, s1
	s_cbranch_execz .LBB1_5
.LBB1_4:
	v_mul_lo_u32 v7, s13, v0
	v_mul_lo_u32 v8, s12, v1
	v_mad_co_u64_u32 v[5:6], null, s12, v0, 0
	v_mul_lo_u32 v9, s17, v0
	v_mul_lo_u32 v10, s16, v1
	v_mad_co_u64_u32 v[0:1], null, s16, v0, 0
	s_and_not1_b32 s0, s0, exec_lo
	v_add3_u32 v6, v6, v8, v7
	v_add_co_u32 v7, vcc_lo, s6, v2
	s_wait_alu 0xfffd
	v_add_co_ci_u32_e64 v8, null, s7, v3, vcc_lo
	v_add3_u32 v1, v1, v10, v9
	v_lshlrev_b64_e32 v[5:6], 2, v[5:6]
	v_mov_b32_e32 v9, 1
	s_delay_alu instid0(VALU_DEP_3) | instskip(NEXT) | instid1(VALU_DEP_3)
	v_lshlrev_b64_e32 v[0:1], 2, v[0:1]
	v_add_co_u32 v5, vcc_lo, s10, v5
	s_wait_alu 0xfffd
	s_delay_alu instid0(VALU_DEP_4) | instskip(NEXT) | instid1(VALU_DEP_3)
	v_add_co_ci_u32_e64 v6, null, s11, v6, vcc_lo
	v_add_co_u32 v0, vcc_lo, s14, v0
	s_wait_alu 0xfffd
	v_add_co_ci_u32_e64 v1, null, s15, v1, vcc_lo
	global_store_b32 v[7:8], v9, off
	s_wait_loadcnt 0x0
	global_store_b32 v[5:6], v4, off
	global_store_b32 v[0:1], v9, off
.LBB1_5:
	s_wait_alu 0xfffe
	s_or_b32 exec_lo, exec_lo, s1
	s_delay_alu instid0(SALU_CYCLE_1)
	s_and_b32 exec_lo, exec_lo, s0
	s_cbranch_execz .LBB1_7
; %bb.6:
	v_add_co_u32 v0, vcc_lo, s6, v2
	s_wait_alu 0xfffd
	v_add_co_ci_u32_e64 v1, null, s7, v3, vcc_lo
	v_mov_b32_e32 v2, 0
	global_store_b32 v[0:1], v2, off
.LBB1_7:
	s_endpgm
	.section	.rodata,"a",@progbits
	.p2align	6, 0x0
	.amdhsa_kernel _ZN9rocsolver6v33100L18stebz_case1_kernelIfPfEEv15rocblas_erange_T_S4_T0_ilPiS6_PS4_lS6_lS6_li
		.amdhsa_group_segment_fixed_size 0
		.amdhsa_private_segment_fixed_size 0
		.amdhsa_kernarg_size 368
		.amdhsa_user_sgpr_count 2
		.amdhsa_user_sgpr_dispatch_ptr 0
		.amdhsa_user_sgpr_queue_ptr 0
		.amdhsa_user_sgpr_kernarg_segment_ptr 1
		.amdhsa_user_sgpr_dispatch_id 0
		.amdhsa_user_sgpr_private_segment_size 0
		.amdhsa_wavefront_size32 1
		.amdhsa_uses_dynamic_stack 0
		.amdhsa_enable_private_segment 0
		.amdhsa_system_sgpr_workgroup_id_x 1
		.amdhsa_system_sgpr_workgroup_id_y 0
		.amdhsa_system_sgpr_workgroup_id_z 0
		.amdhsa_system_sgpr_workgroup_info 0
		.amdhsa_system_vgpr_workitem_id 0
		.amdhsa_next_free_vgpr 11
		.amdhsa_next_free_sgpr 23
		.amdhsa_reserve_vcc 1
		.amdhsa_float_round_mode_32 0
		.amdhsa_float_round_mode_16_64 0
		.amdhsa_float_denorm_mode_32 3
		.amdhsa_float_denorm_mode_16_64 3
		.amdhsa_fp16_overflow 0
		.amdhsa_workgroup_processor_mode 1
		.amdhsa_memory_ordered 1
		.amdhsa_forward_progress 1
		.amdhsa_inst_pref_size 6
		.amdhsa_round_robin_scheduling 0
		.amdhsa_exception_fp_ieee_invalid_op 0
		.amdhsa_exception_fp_denorm_src 0
		.amdhsa_exception_fp_ieee_div_zero 0
		.amdhsa_exception_fp_ieee_overflow 0
		.amdhsa_exception_fp_ieee_underflow 0
		.amdhsa_exception_fp_ieee_inexact 0
		.amdhsa_exception_int_div_zero 0
	.end_amdhsa_kernel
	.section	.text._ZN9rocsolver6v33100L18stebz_case1_kernelIfPfEEv15rocblas_erange_T_S4_T0_ilPiS6_PS4_lS6_lS6_li,"axG",@progbits,_ZN9rocsolver6v33100L18stebz_case1_kernelIfPfEEv15rocblas_erange_T_S4_T0_ilPiS6_PS4_lS6_lS6_li,comdat
.Lfunc_end1:
	.size	_ZN9rocsolver6v33100L18stebz_case1_kernelIfPfEEv15rocblas_erange_T_S4_T0_ilPiS6_PS4_lS6_lS6_li, .Lfunc_end1-_ZN9rocsolver6v33100L18stebz_case1_kernelIfPfEEv15rocblas_erange_T_S4_T0_ilPiS6_PS4_lS6_lS6_li
                                        ; -- End function
	.set _ZN9rocsolver6v33100L18stebz_case1_kernelIfPfEEv15rocblas_erange_T_S4_T0_ilPiS6_PS4_lS6_lS6_li.num_vgpr, 11
	.set _ZN9rocsolver6v33100L18stebz_case1_kernelIfPfEEv15rocblas_erange_T_S4_T0_ilPiS6_PS4_lS6_lS6_li.num_agpr, 0
	.set _ZN9rocsolver6v33100L18stebz_case1_kernelIfPfEEv15rocblas_erange_T_S4_T0_ilPiS6_PS4_lS6_lS6_li.numbered_sgpr, 23
	.set _ZN9rocsolver6v33100L18stebz_case1_kernelIfPfEEv15rocblas_erange_T_S4_T0_ilPiS6_PS4_lS6_lS6_li.num_named_barrier, 0
	.set _ZN9rocsolver6v33100L18stebz_case1_kernelIfPfEEv15rocblas_erange_T_S4_T0_ilPiS6_PS4_lS6_lS6_li.private_seg_size, 0
	.set _ZN9rocsolver6v33100L18stebz_case1_kernelIfPfEEv15rocblas_erange_T_S4_T0_ilPiS6_PS4_lS6_lS6_li.uses_vcc, 1
	.set _ZN9rocsolver6v33100L18stebz_case1_kernelIfPfEEv15rocblas_erange_T_S4_T0_ilPiS6_PS4_lS6_lS6_li.uses_flat_scratch, 0
	.set _ZN9rocsolver6v33100L18stebz_case1_kernelIfPfEEv15rocblas_erange_T_S4_T0_ilPiS6_PS4_lS6_lS6_li.has_dyn_sized_stack, 0
	.set _ZN9rocsolver6v33100L18stebz_case1_kernelIfPfEEv15rocblas_erange_T_S4_T0_ilPiS6_PS4_lS6_lS6_li.has_recursion, 0
	.set _ZN9rocsolver6v33100L18stebz_case1_kernelIfPfEEv15rocblas_erange_T_S4_T0_ilPiS6_PS4_lS6_lS6_li.has_indirect_call, 0
	.section	.AMDGPU.csdata,"",@progbits
; Kernel info:
; codeLenInByte = 704
; TotalNumSgprs: 25
; NumVgprs: 11
; ScratchSize: 0
; MemoryBound: 0
; FloatMode: 240
; IeeeMode: 1
; LDSByteSize: 0 bytes/workgroup (compile time only)
; SGPRBlocks: 0
; VGPRBlocks: 1
; NumSGPRsForWavesPerEU: 25
; NumVGPRsForWavesPerEU: 11
; Occupancy: 16
; WaveLimiterHint : 0
; COMPUTE_PGM_RSRC2:SCRATCH_EN: 0
; COMPUTE_PGM_RSRC2:USER_SGPR: 2
; COMPUTE_PGM_RSRC2:TRAP_HANDLER: 0
; COMPUTE_PGM_RSRC2:TGID_X_EN: 1
; COMPUTE_PGM_RSRC2:TGID_Y_EN: 0
; COMPUTE_PGM_RSRC2:TGID_Z_EN: 0
; COMPUTE_PGM_RSRC2:TIDIG_COMP_CNT: 0
	.section	.text._ZN9rocsolver6v33100L22stebz_splitting_kernelIfPfEEv15rocblas_erange_iT_S4_iiT0_iiS5_iiPiPS4_lS6_lS6_S7_S7_S7_S7_S6_S4_S4_,"axG",@progbits,_ZN9rocsolver6v33100L22stebz_splitting_kernelIfPfEEv15rocblas_erange_iT_S4_iiT0_iiS5_iiPiPS4_lS6_lS6_S7_S7_S7_S7_S6_S4_S4_,comdat
	.globl	_ZN9rocsolver6v33100L22stebz_splitting_kernelIfPfEEv15rocblas_erange_iT_S4_iiT0_iiS5_iiPiPS4_lS6_lS6_S7_S7_S7_S7_S6_S4_S4_ ; -- Begin function _ZN9rocsolver6v33100L22stebz_splitting_kernelIfPfEEv15rocblas_erange_iT_S4_iiT0_iiS5_iiPiPS4_lS6_lS6_S7_S7_S7_S7_S6_S4_S4_
	.p2align	8
	.type	_ZN9rocsolver6v33100L22stebz_splitting_kernelIfPfEEv15rocblas_erange_iT_S4_iiT0_iiS5_iiPiPS4_lS6_lS6_S7_S7_S7_S7_S6_S4_S4_,@function
_ZN9rocsolver6v33100L22stebz_splitting_kernelIfPfEEv15rocblas_erange_iT_S4_iiT0_iiS5_iiPiPS4_lS6_lS6_S7_S7_S7_S7_S6_S4_S4_: ; @_ZN9rocsolver6v33100L22stebz_splitting_kernelIfPfEEv15rocblas_erange_iT_S4_iiT0_iiS5_iiPiPS4_lS6_lS6_S7_S7_S7_S7_S6_S4_S4_
; %bb.0:
	s_clause 0x1
	s_load_b128 s[24:27], s[0:1], 0x0
	s_load_b64 s[34:35], s[0:1], 0x10
	v_lshlrev_b32_e32 v15, 2, v0
	v_dual_mov_b32 v3, 0 :: v_dual_add_nc_u32 v16, -1, v0
	s_wait_kmcnt 0x0
	s_add_co_i32 s33, s25, -1
	s_delay_alu instid0(SALU_CYCLE_1) | instskip(NEXT) | instid1(SALU_CYCLE_1)
	s_ashr_i32 s2, s33, 31
	s_lshr_b32 s2, s2, 24
	s_delay_alu instid0(SALU_CYCLE_1) | instskip(NEXT) | instid1(SALU_CYCLE_1)
	s_add_co_i32 s2, s33, s2
	s_and_b32 s3, s2, 0xffffff00
	s_ashr_i32 s2, s2, 8
	s_sub_co_i32 s3, s33, s3
	s_delay_alu instid0(SALU_CYCLE_1)
	v_cmp_gt_i32_e32 vcc_lo, s3, v0
	v_add_co_ci_u32_e64 v17, null, s2, 0, vcc_lo
	v_cmp_eq_u32_e64 s2, 0, v0
	v_cmp_ne_u32_e32 vcc_lo, 0, v0
	ds_store_b32 v15, v17
	s_wait_dscnt 0x0
	s_barrier_signal -1
	s_barrier_wait -1
	global_inv scope:SCOPE_SE
	s_and_saveexec_b32 s4, vcc_lo
	s_cbranch_execz .LBB2_10
; %bb.1:
	v_mov_b32_e32 v3, 0
	v_mov_b32_e32 v1, 0
	s_mov_b32 s5, exec_lo
	v_cmpx_lt_u32_e32 6, v16
	s_cbranch_execz .LBB2_5
; %bb.2:
	v_and_b32_e32 v1, 0xf8, v0
	v_mov_b32_e32 v3, 0
	s_mov_b32 s6, 0
	s_mov_b32 s7, 0
	;; [unrolled: 1-line block ×3, first 2 shown]
.LBB2_3:                                ; =>This Inner Loop Header: Depth=1
	v_mov_b32_e32 v2, s7
	s_add_co_i32 s8, s8, 8
	s_add_co_i32 s7, s7, 32
	s_wait_alu 0xfffe
	v_cmp_eq_u32_e64 s3, s8, v1
	ds_load_b128 v[4:7], v2
	ds_load_b128 v[8:11], v2 offset:16
	s_or_b32 s6, s3, s6
	s_wait_dscnt 0x1
	v_add_nc_u32_e32 v2, v4, v3
	s_delay_alu instid0(VALU_DEP_1) | instskip(NEXT) | instid1(VALU_DEP_1)
	v_add_nc_u32_e32 v2, v5, v2
	v_add_nc_u32_e32 v2, v6, v2
	s_delay_alu instid0(VALU_DEP_1) | instskip(SKIP_1) | instid1(VALU_DEP_1)
	v_add_nc_u32_e32 v2, v7, v2
	s_wait_dscnt 0x0
	v_add_nc_u32_e32 v2, v8, v2
	s_delay_alu instid0(VALU_DEP_1) | instskip(NEXT) | instid1(VALU_DEP_1)
	v_add_nc_u32_e32 v2, v9, v2
	v_add_nc_u32_e32 v2, v10, v2
	s_delay_alu instid0(VALU_DEP_1)
	v_add_nc_u32_e32 v3, v11, v2
	s_wait_alu 0xfffe
	s_and_not1_b32 exec_lo, exec_lo, s6
	s_cbranch_execnz .LBB2_3
; %bb.4:
	s_or_b32 exec_lo, exec_lo, s6
.LBB2_5:
	s_delay_alu instid0(SALU_CYCLE_1) | instskip(SKIP_3) | instid1(VALU_DEP_1)
	s_or_b32 exec_lo, exec_lo, s5
	v_and_b32_e32 v2, 7, v0
	s_mov_b32 s6, 0
	s_mov_b32 s5, exec_lo
	v_cmpx_ne_u32_e32 0, v2
	s_cbranch_execz .LBB2_9
; %bb.6:
	v_lshlrev_b32_e32 v1, 2, v1
.LBB2_7:                                ; =>This Inner Loop Header: Depth=1
	ds_load_b32 v4, v1
	v_add_nc_u32_e32 v2, -1, v2
	v_add_nc_u32_e32 v1, 4, v1
	s_delay_alu instid0(VALU_DEP_2)
	v_cmp_eq_u32_e64 s3, 0, v2
	s_wait_alu 0xfffe
	s_or_b32 s6, s3, s6
	s_wait_dscnt 0x0
	v_add_nc_u32_e32 v3, v4, v3
	s_wait_alu 0xfffe
	s_and_not1_b32 exec_lo, exec_lo, s6
	s_cbranch_execnz .LBB2_7
; %bb.8:
	s_or_b32 exec_lo, exec_lo, s6
.LBB2_9:
	s_delay_alu instid0(SALU_CYCLE_1)
	s_or_b32 exec_lo, exec_lo, s5
.LBB2_10:
	s_delay_alu instid0(SALU_CYCLE_1)
	s_or_b32 exec_lo, exec_lo, s4
	s_clause 0x2
	s_load_b128 s[28:31], s[0:1], 0x18
	s_load_b512 s[8:23], s[0:1], 0x38
	s_load_b64 s[38:39], s[0:1], 0x90
	v_ashrrev_i32_e32 v4, 31, v3
	s_mul_i32 s4, s25, ttmp7
	v_mov_b32_e32 v5, 0
	s_ashr_i32 s5, s4, 31
	s_mov_b32 s36, ttmp7
	v_lshlrev_b64_e32 v[13:14], 2, v[3:4]
	s_lshl_b64 s[4:5], s[4:5], 2
	s_ashr_i32 s37, ttmp7, 31
	s_mul_i32 s40, s33, ttmp7
	s_delay_alu instid0(SALU_CYCLE_1)
	s_ashr_i32 s41, s40, 31
	s_wait_kmcnt 0x0
	s_ashr_i32 s7, s31, 31
	s_add_nc_u64 s[4:5], s[18:19], s[4:5]
	s_mov_b32 s6, s31
	v_add_co_u32 v1, s3, s4, v13
	s_wait_alu 0xf1ff
	v_add_co_ci_u32_e64 v2, null, s5, v14, s3
	s_ashr_i32 s43, s30, 31
	s_wait_alu 0xfffe
	s_mul_u64 s[18:19], s[6:7], s[36:37]
	s_mov_b32 s42, s30
	s_mul_u64 s[12:13], s[12:13], s[36:37]
	s_mov_b32 s30, exec_lo
	v_cmpx_lt_i32_e32 0, v17
	s_cbranch_execz .LBB2_16
; %bb.11:
	s_load_b128 s[4:7], s[0:1], 0x28
	s_lshl_b64 s[44:45], s[18:19], 2
	s_lshl_b64 s[46:47], s[42:43], 2
	;; [unrolled: 1-line block ×4, first 2 shown]
	s_add_nc_u64 s[44:45], s[44:45], s[46:47]
	s_add_nc_u64 s[46:47], s[22:23], s[48:49]
	s_add_nc_u64 s[48:49], s[10:11], s[50:51]
	v_add_co_u32 v7, s3, s46, v13
	s_wait_alu 0xf1ff
	v_add_co_ci_u32_e64 v8, null, s47, v14, s3
	s_add_nc_u64 s[44:45], s[28:29], s[44:45]
	v_add_co_u32 v9, s3, s48, v13
	s_wait_alu 0xf1ff
	v_add_co_ci_u32_e64 v10, null, s49, v14, s3
	v_add_co_u32 v11, s3, s44, v13
	s_wait_alu 0xf1ff
	v_add_co_ci_u32_e64 v12, null, s45, v14, s3
	s_wait_kmcnt 0x0
	s_ashr_i32 s53, s7, 31
	s_mov_b32 s52, s7
	s_ashr_i32 s51, s6, 31
	s_mov_b32 s50, s6
	s_mul_u64 s[6:7], s[36:37], s[52:53]
	s_lshl_b64 s[46:47], s[50:51], 2
	s_wait_alu 0xfffe
	s_lshl_b64 s[6:7], s[6:7], 2
	v_mov_b32_e32 v5, 0
	s_wait_alu 0xfffe
	s_add_nc_u64 s[6:7], s[6:7], s[46:47]
	s_wait_alu 0xfffe
	s_add_nc_u64 s[4:5], s[4:5], s[6:7]
	s_wait_alu 0xfffe
	v_add_co_u32 v13, s3, s4, v13
	s_wait_alu 0xf1ff
	v_add_co_ci_u32_e64 v14, null, s5, v14, s3
	s_mov_b32 s5, 0
	s_branch .LBB2_13
.LBB2_12:                               ;   in Loop: Header=BB2_13 Depth=1
	s_wait_alu 0xfffe
	s_or_b32 exec_lo, exec_lo, s4
	v_add_co_u32 v13, s3, v13, 4
	v_add_nc_u32_e32 v17, -1, v17
	s_wait_alu 0xf1ff
	v_add_co_ci_u32_e64 v14, null, 0, v14, s3
	v_add_co_u32 v11, s3, v11, 4
	global_store_b32 v[7:8], v4, off
	global_store_b32 v[9:10], v6, off
	s_wait_alu 0xf1ff
	v_add_co_ci_u32_e64 v12, null, 0, v12, s3
	v_add_co_u32 v7, s3, v7, 4
	s_wait_alu 0xf1ff
	v_add_co_ci_u32_e64 v8, null, 0, v8, s3
	v_cmp_eq_u32_e64 s3, 0, v17
	v_add_co_u32 v9, s4, v9, 4
	v_add_nc_u32_e32 v3, 1, v3
	s_wait_alu 0xf1ff
	v_add_co_ci_u32_e64 v10, null, 0, v10, s4
	s_or_b32 s5, s3, s5
	s_wait_alu 0xfffe
	s_and_not1_b32 exec_lo, exec_lo, s5
	s_cbranch_execz .LBB2_15
.LBB2_13:                               ; =>This Inner Loop Header: Depth=1
	global_load_b64 v[18:19], v[11:12], off
	global_load_b32 v6, v[13:14], off
	s_mov_b32 s4, exec_lo
	s_wait_loadcnt 0x1
	v_mul_f32_e32 v4, v18, v19
	s_delay_alu instid0(VALU_DEP_1) | instskip(SKIP_2) | instid1(VALU_DEP_2)
	v_mul_f32_e64 v18, s38, |v4|
	s_wait_loadcnt 0x0
	v_mul_f32_e32 v4, v6, v6
	v_fma_f32 v18, s38, v18, s39
	s_delay_alu instid0(VALU_DEP_1)
	v_cmpx_gt_f32_e32 v18, v4
	s_cbranch_execz .LBB2_12
; %bb.14:                               ;   in Loop: Header=BB2_13 Depth=1
	v_ashrrev_i32_e32 v6, 31, v5
	v_mov_b32_e32 v4, 0
	s_delay_alu instid0(VALU_DEP_2) | instskip(SKIP_1) | instid1(VALU_DEP_2)
	v_lshlrev_b64_e32 v[18:19], 2, v[5:6]
	v_dual_mov_b32 v6, 0 :: v_dual_add_nc_u32 v5, 1, v5
	v_add_co_u32 v18, s3, v1, v18
	s_wait_alu 0xf1ff
	s_delay_alu instid0(VALU_DEP_3)
	v_add_co_ci_u32_e64 v19, null, v2, v19, s3
	global_store_b32 v[18:19], v3, off
	s_branch .LBB2_12
.LBB2_15:
	s_or_b32 exec_lo, exec_lo, s5
.LBB2_16:
	s_delay_alu instid0(SALU_CYCLE_1)
	s_or_b32 exec_lo, exec_lo, s30
	v_mov_b32_e32 v3, 0
	ds_store_b32 v15, v5
	s_wait_storecnt 0x0
	s_wait_loadcnt_dscnt 0x0
	s_barrier_signal -1
	s_barrier_wait -1
	global_inv scope:SCOPE_SE
	s_and_saveexec_b32 s3, vcc_lo
	s_cbranch_execz .LBB2_26
; %bb.17:
	v_dual_mov_b32 v3, 0 :: v_dual_mov_b32 v4, 0
	s_mov_b32 s4, exec_lo
	v_cmpx_lt_u32_e32 6, v16
	s_cbranch_execz .LBB2_21
; %bb.18:
	v_dual_mov_b32 v3, 0 :: v_dual_and_b32 v4, 0xf8, v0
	s_mov_b32 s5, 0
	s_mov_b32 s6, 0
	;; [unrolled: 1-line block ×3, first 2 shown]
.LBB2_19:                               ; =>This Inner Loop Header: Depth=1
	s_wait_alu 0xfffe
	v_mov_b32_e32 v10, s6
	s_add_co_i32 s7, s7, 8
	s_add_co_i32 s6, s6, 32
	s_wait_alu 0xfffe
	v_cmp_eq_u32_e32 vcc_lo, s7, v4
	ds_load_b128 v[6:9], v10
	ds_load_b128 v[10:13], v10 offset:16
	s_or_b32 s5, vcc_lo, s5
	s_wait_dscnt 0x1
	v_add_nc_u32_e32 v3, v6, v3
	s_delay_alu instid0(VALU_DEP_1) | instskip(NEXT) | instid1(VALU_DEP_1)
	v_add_nc_u32_e32 v3, v7, v3
	v_add_nc_u32_e32 v3, v8, v3
	s_delay_alu instid0(VALU_DEP_1) | instskip(SKIP_1) | instid1(VALU_DEP_1)
	v_add_nc_u32_e32 v3, v9, v3
	s_wait_dscnt 0x0
	v_add_nc_u32_e32 v3, v10, v3
	s_delay_alu instid0(VALU_DEP_1) | instskip(NEXT) | instid1(VALU_DEP_1)
	v_add_nc_u32_e32 v3, v11, v3
	v_add_nc_u32_e32 v3, v12, v3
	s_delay_alu instid0(VALU_DEP_1)
	v_add_nc_u32_e32 v3, v13, v3
	s_wait_alu 0xfffe
	s_and_not1_b32 exec_lo, exec_lo, s5
	s_cbranch_execnz .LBB2_19
; %bb.20:
	s_or_b32 exec_lo, exec_lo, s5
.LBB2_21:
	s_wait_alu 0xfffe
	s_or_b32 exec_lo, exec_lo, s4
	v_and_b32_e32 v6, 7, v0
	s_mov_b32 s5, 0
	s_mov_b32 s4, exec_lo
	s_delay_alu instid0(VALU_DEP_1)
	v_cmpx_ne_u32_e32 0, v6
	s_cbranch_execz .LBB2_25
; %bb.22:
	v_lshlrev_b32_e32 v4, 2, v4
.LBB2_23:                               ; =>This Inner Loop Header: Depth=1
	ds_load_b32 v7, v4
	v_add_nc_u32_e32 v6, -1, v6
	v_add_nc_u32_e32 v4, 4, v4
	s_delay_alu instid0(VALU_DEP_2)
	v_cmp_eq_u32_e32 vcc_lo, 0, v6
	s_wait_alu 0xfffe
	s_or_b32 s5, vcc_lo, s5
	s_wait_dscnt 0x0
	v_add_nc_u32_e32 v3, v7, v3
	s_wait_alu 0xfffe
	s_and_not1_b32 exec_lo, exec_lo, s5
	s_cbranch_execnz .LBB2_23
; %bb.24:
	s_or_b32 exec_lo, exec_lo, s5
.LBB2_25:
	s_wait_alu 0xfffe
	s_or_b32 exec_lo, exec_lo, s4
.LBB2_26:
	s_wait_alu 0xfffe
	s_or_b32 exec_lo, exec_lo, s3
	s_mul_u64 s[4:5], s[16:17], s[36:37]
	s_mov_b32 s7, 0
	s_mov_b32 s6, exec_lo
	v_cmpx_lt_i32_e32 0, v5
	s_cbranch_execz .LBB2_29
; %bb.27:
	v_ashrrev_i32_e32 v4, 31, v3
	s_wait_alu 0xfffe
	s_lshl_b64 s[16:17], s[4:5], 2
	s_delay_alu instid0(SALU_CYCLE_1) | instskip(NEXT) | instid1(VALU_DEP_1)
	s_add_nc_u64 s[16:17], s[14:15], s[16:17]
	v_lshlrev_b64_e32 v[6:7], 2, v[3:4]
	v_mov_b32_e32 v4, v5
	s_delay_alu instid0(VALU_DEP_2) | instskip(SKIP_1) | instid1(VALU_DEP_3)
	v_add_co_u32 v6, vcc_lo, s16, v6
	s_wait_alu 0xfffd
	v_add_co_ci_u32_e64 v7, null, s17, v7, vcc_lo
.LBB2_28:                               ; =>This Inner Loop Header: Depth=1
	global_load_b32 v8, v[1:2], off
	v_add_nc_u32_e32 v4, -1, v4
	v_add_co_u32 v1, vcc_lo, v1, 4
	s_wait_alu 0xfffd
	v_add_co_ci_u32_e64 v2, null, 0, v2, vcc_lo
	s_delay_alu instid0(VALU_DEP_3)
	v_cmp_eq_u32_e32 vcc_lo, 0, v4
	s_or_b32 s7, vcc_lo, s7
	s_wait_loadcnt 0x0
	v_add_nc_u32_e32 v8, 1, v8
	global_store_b32 v[6:7], v8, off
	v_add_co_u32 v6, s3, v6, 4
	s_wait_alu 0xf1ff
	v_add_co_ci_u32_e64 v7, null, 0, v7, s3
	s_wait_alu 0xfffe
	s_and_not1_b32 exec_lo, exec_lo, s7
	s_cbranch_execnz .LBB2_28
.LBB2_29:
	s_wait_alu 0xfffe
	s_or_b32 exec_lo, exec_lo, s6
	v_cmp_eq_u32_e64 s3, 0xff, v0
	s_and_saveexec_b32 s6, s3
	s_cbranch_execz .LBB2_31
; %bb.30:
	v_dual_mov_b32 v4, 0 :: v_dual_add_nc_u32 v1, v3, v5
	s_lshl_b64 s[4:5], s[4:5], 2
	v_mov_b32_e32 v5, s25
	s_wait_alu 0xfffe
	s_add_nc_u64 s[4:5], s[14:15], s[4:5]
	v_ashrrev_i32_e32 v2, 31, v1
	s_delay_alu instid0(VALU_DEP_1) | instskip(SKIP_2) | instid1(VALU_DEP_2)
	v_lshlrev_b64_e32 v[2:3], 2, v[1:2]
	v_add_nc_u32_e32 v1, 1, v1
	s_wait_alu 0xfffe
	v_add_co_u32 v2, vcc_lo, s4, v2
	s_wait_alu 0xfffd
	s_delay_alu instid0(VALU_DEP_3)
	v_add_co_ci_u32_e64 v3, null, s5, v3, vcc_lo
	s_lshl_b64 s[4:5], s[36:37], 2
	s_wait_alu 0xfffe
	s_add_nc_u64 s[4:5], s[8:9], s[4:5]
	global_store_b32 v[2:3], v5, off
	global_store_b32 v4, v1, s[4:5]
.LBB2_31:
	s_wait_alu 0xfffe
	s_or_b32 exec_lo, exec_lo, s6
	v_mov_b32_e32 v3, 0
	v_bfrev_b32_e32 v4, -2
	s_mov_b32 s5, exec_lo
	s_wait_loadcnt 0x0
	s_wait_storecnt 0x0
	s_barrier_signal -1
	s_barrier_wait -1
	global_inv scope:SCOPE_SE
	v_cmpx_gt_i32_e64 s33, v0
	s_cbranch_execz .LBB2_35
; %bb.32:
	s_lshl_b64 s[6:7], s[40:41], 2
	v_mov_b32_e32 v3, 0
	s_wait_alu 0xfffe
	s_add_nc_u64 s[6:7], s[22:23], s[6:7]
	v_bfrev_b32_e32 v4, -2
	s_wait_alu 0xfffe
	v_add_co_u32 v1, s4, s6, v15
	s_wait_alu 0xf1ff
	v_add_co_ci_u32_e64 v2, null, s7, 0, s4
	v_mov_b32_e32 v5, v0
	s_mov_b32 s6, 0
.LBB2_33:                               ; =>This Inner Loop Header: Depth=1
	global_load_b32 v6, v[1:2], off
	v_cmp_eq_u32_e32 vcc_lo, 0x7fffffff, v4
	v_add_nc_u32_e32 v7, 1, v5
	v_add_co_u32 v1, s4, 0x400, v1
	s_wait_alu 0xf1ff
	v_add_co_ci_u32_e64 v2, null, 0, v2, s4
	s_wait_loadcnt 0x0
	v_cmp_lt_f32_e64 s7, v3, |v6|
	s_or_b32 vcc_lo, s7, vcc_lo
	s_wait_alu 0xfffe
	v_dual_cndmask_b32 v4, v4, v7 :: v_dual_add_nc_u32 v5, 0x100, v5
	v_cndmask_b32_e64 v3, v3, |v6|, vcc_lo
	s_delay_alu instid0(VALU_DEP_2)
	v_cmp_le_i32_e64 s4, s33, v5
	s_or_b32 s6, s4, s6
	s_wait_alu 0xfffe
	s_and_not1_b32 exec_lo, exec_lo, s6
	s_cbranch_execnz .LBB2_33
; %bb.34:
	s_or_b32 exec_lo, exec_lo, s6
.LBB2_35:
	s_wait_alu 0xfffe
	s_or_b32 exec_lo, exec_lo, s5
	s_cmp_lt_i32 s25, 3
	ds_store_b32 v15, v3 offset:1024
	ds_store_b32 v15, v4
	s_wait_loadcnt_dscnt 0x0
	s_barrier_signal -1
	s_barrier_wait -1
	global_inv scope:SCOPE_SE
	s_cbranch_scc1 .LBB2_72
; %bb.36:
	v_or_b32_e32 v1, 0x400, v15
	s_mov_b32 s5, exec_lo
	v_cmpx_gt_u32_e32 0x80, v0
	s_cbranch_execz .LBB2_42
; %bb.37:
	ds_load_b32 v2, v1 offset:512
	ds_load_b32 v5, v15 offset:512
	s_mov_b32 s7, exec_lo
	s_wait_dscnt 0x1
	v_cmp_lt_f32_e64 s6, v3, v2
	v_cmpx_nlt_f32_e32 v3, v2
	s_cbranch_execz .LBB2_39
; %bb.38:
	v_cmp_eq_f32_e32 vcc_lo, v3, v2
	s_wait_dscnt 0x0
	v_cmp_gt_i32_e64 s4, v4, v5
	s_and_not1_b32 s6, s6, exec_lo
	s_and_b32 s4, vcc_lo, s4
	s_wait_alu 0xfffe
	s_and_b32 s4, s4, exec_lo
	s_wait_alu 0xfffe
	s_or_b32 s6, s6, s4
.LBB2_39:
	s_wait_alu 0xfffe
	s_or_b32 exec_lo, exec_lo, s7
	s_and_saveexec_b32 s4, s6
	s_cbranch_execz .LBB2_41
; %bb.40:
	s_wait_dscnt 0x0
	v_dual_mov_b32 v4, v5 :: v_dual_mov_b32 v3, v2
	ds_store_b32 v1, v2
	ds_store_b32 v15, v5
.LBB2_41:
	s_wait_alu 0xfffe
	s_or_b32 exec_lo, exec_lo, s4
.LBB2_42:
	s_wait_alu 0xfffe
	s_or_b32 exec_lo, exec_lo, s5
	s_delay_alu instid0(SALU_CYCLE_1)
	s_mov_b32 s5, exec_lo
	s_wait_loadcnt_dscnt 0x0
	s_barrier_signal -1
	s_barrier_wait -1
	global_inv scope:SCOPE_SE
	v_cmpx_gt_u32_e32 64, v0
	s_cbranch_execz .LBB2_48
; %bb.43:
	ds_load_b32 v2, v1 offset:256
	ds_load_b32 v5, v15 offset:256
	s_mov_b32 s7, exec_lo
	s_wait_dscnt 0x1
	v_cmp_lt_f32_e64 s6, v3, v2
	v_cmpx_nlt_f32_e32 v3, v2
	s_cbranch_execz .LBB2_45
; %bb.44:
	v_cmp_eq_f32_e32 vcc_lo, v3, v2
	s_wait_dscnt 0x0
	v_cmp_gt_i32_e64 s4, v4, v5
	s_and_not1_b32 s6, s6, exec_lo
	s_and_b32 s4, vcc_lo, s4
	s_wait_alu 0xfffe
	s_and_b32 s4, s4, exec_lo
	s_wait_alu 0xfffe
	s_or_b32 s6, s6, s4
.LBB2_45:
	s_wait_alu 0xfffe
	s_or_b32 exec_lo, exec_lo, s7
	s_and_saveexec_b32 s4, s6
	s_cbranch_execz .LBB2_47
; %bb.46:
	s_wait_dscnt 0x0
	v_dual_mov_b32 v4, v5 :: v_dual_mov_b32 v3, v2
	ds_store_b32 v1, v2
	ds_store_b32 v15, v5
.LBB2_47:
	s_wait_alu 0xfffe
	s_or_b32 exec_lo, exec_lo, s4
.LBB2_48:
	s_wait_alu 0xfffe
	s_or_b32 exec_lo, exec_lo, s5
	s_delay_alu instid0(SALU_CYCLE_1)
	s_mov_b32 s6, exec_lo
	s_wait_loadcnt_dscnt 0x0
	s_barrier_signal -1
	s_barrier_wait -1
	global_inv scope:SCOPE_SE
	v_cmpx_gt_u32_e32 32, v0
	s_cbranch_execz .LBB2_71
; %bb.49:
	ds_load_b32 v2, v1 offset:128
	ds_load_b32 v5, v15 offset:128
	s_mov_b32 s7, exec_lo
	s_wait_dscnt 0x1
	v_cmp_lt_f32_e64 s5, v3, v2
	v_cmpx_nlt_f32_e32 v3, v2
	s_cbranch_execz .LBB2_51
; %bb.50:
	v_cmp_eq_f32_e32 vcc_lo, v3, v2
	s_wait_dscnt 0x0
	v_cmp_gt_i32_e64 s4, v4, v5
	s_and_not1_b32 s5, s5, exec_lo
	s_and_b32 s4, vcc_lo, s4
	s_wait_alu 0xfffe
	s_and_b32 s4, s4, exec_lo
	s_wait_alu 0xfffe
	s_or_b32 s5, s5, s4
.LBB2_51:
	s_wait_alu 0xfffe
	s_or_b32 exec_lo, exec_lo, s7
	s_and_saveexec_b32 s4, s5
	s_cbranch_execz .LBB2_53
; %bb.52:
	s_wait_dscnt 0x0
	v_dual_mov_b32 v3, v2 :: v_dual_mov_b32 v4, v5
	ds_store_b32 v1, v2
	ds_store_b32 v15, v5
.LBB2_53:
	s_wait_alu 0xfffe
	s_or_b32 exec_lo, exec_lo, s4
	ds_load_b32 v2, v1 offset:64
	s_wait_dscnt 0x1
	ds_load_b32 v5, v15 offset:64
	s_mov_b32 s7, exec_lo
	s_wait_dscnt 0x1
	v_cmp_lt_f32_e64 s5, v3, v2
	v_cmpx_nlt_f32_e32 v3, v2
	s_cbranch_execz .LBB2_55
; %bb.54:
	v_cmp_eq_f32_e32 vcc_lo, v3, v2
	s_wait_dscnt 0x0
	v_cmp_gt_i32_e64 s4, v4, v5
	s_and_not1_b32 s5, s5, exec_lo
	s_and_b32 s4, vcc_lo, s4
	s_wait_alu 0xfffe
	s_and_b32 s4, s4, exec_lo
	s_wait_alu 0xfffe
	s_or_b32 s5, s5, s4
.LBB2_55:
	s_wait_alu 0xfffe
	s_or_b32 exec_lo, exec_lo, s7
	s_and_saveexec_b32 s4, s5
	s_cbranch_execz .LBB2_57
; %bb.56:
	s_wait_dscnt 0x0
	v_dual_mov_b32 v3, v2 :: v_dual_mov_b32 v4, v5
	ds_store_b32 v1, v2
	ds_store_b32 v15, v5
.LBB2_57:
	s_wait_alu 0xfffe
	s_or_b32 exec_lo, exec_lo, s4
	ds_load_b32 v2, v1 offset:32
	s_wait_dscnt 0x1
	;; [unrolled: 31-line block ×5, first 2 shown]
	ds_load_b32 v5, v15 offset:4
	s_wait_dscnt 0x1
	v_cmp_eq_f32_e32 vcc_lo, v3, v2
	s_wait_dscnt 0x0
	v_cmp_gt_i32_e64 s4, v4, v5
	v_cmp_lt_f32_e64 s5, v3, v2
	s_and_b32 s4, vcc_lo, s4
	s_wait_alu 0xfffe
	s_or_b32 s4, s5, s4
	s_wait_alu 0xfffe
	s_and_b32 exec_lo, exec_lo, s4
	s_cbranch_execz .LBB2_71
; %bb.70:
	ds_store_b32 v1, v2
	ds_store_b32 v15, v5
.LBB2_71:
	s_wait_alu 0xfffe
	s_or_b32 exec_lo, exec_lo, s6
.LBB2_72:
	v_dual_mov_b32 v1, 0 :: v_dual_mov_b32 v2, s27
	s_wait_loadcnt_dscnt 0x0
	s_barrier_signal -1
	s_barrier_wait -1
	global_inv scope:SCOPE_SE
	ds_load_b32 v1, v1 offset:1024
	s_clause 0x1
	s_load_b128 s[4:7], s[0:1], 0x78
	s_load_b64 s[14:15], s[0:1], 0x88
	s_mov_b32 s9, -1
	s_wait_dscnt 0x0
	v_readfirstlane_b32 s0, v1
	v_mov_b32_e32 v1, s26
	s_mul_f32 s0, s39, s0
	s_delay_alu instid0(SALU_CYCLE_3)
	s_cmp_lt_f32 s0, s39
	s_cselect_b32 s39, s39, s0
	s_cmp_lg_u32 s24, 0xe9
	s_cbranch_scc1 .LBB2_121
; %bb.73:
	s_lshl_b64 s[18:19], s[18:19], 2
	s_lshl_b64 s[26:27], s[42:43], 2
	s_add_nc_u64 s[0:1], s[28:29], s[18:19]
	s_lshl_b32 s8, s25, 1
	s_wait_alu 0xfffe
	s_add_nc_u64 s[30:31], s[0:1], s[26:27]
	s_lshl_b64 s[0:1], s[40:41], 2
	s_mul_i32 s40, s8, ttmp7
	s_add_nc_u64 s[16:17], s[22:23], s[0:1]
	s_ashr_i32 s41, s40, 31
	s_lshl_b64 s[0:1], s[12:13], 2
	s_lshl_b64 s[22:23], s[40:41], 2
	s_add_nc_u64 s[12:13], s[10:11], s[0:1]
	s_wait_kmcnt 0x0
	s_add_nc_u64 s[6:7], s[6:7], s[22:23]
	s_add_nc_u64 s[10:11], s[14:15], s[22:23]
	s_and_saveexec_b32 s1, s2
	s_cbranch_execz .LBB2_81
; %bb.74:
	v_mov_b32_e32 v5, 0
	s_cmp_gt_i32 s25, 1
	s_clause 0x1
	global_load_b32 v1, v5, s[12:13]
	global_load_b32 v4, v5, s[30:31]
	s_cselect_b32 s9, -1, 0
	s_cmp_lt_i32 s25, 2
	s_wait_loadcnt 0x1
	v_and_b32_e32 v2, 0x7fffffff, v1
	s_wait_loadcnt 0x0
	s_delay_alu instid0(VALU_DEP_1) | instskip(NEXT) | instid1(VALU_DEP_1)
	v_sub_f32_e32 v1, v4, v2
	v_sub_f32_e32 v6, v4, v1
	s_delay_alu instid0(VALU_DEP_1)
	v_cmp_ge_f32_e32 vcc_lo, s39, v6
	s_wait_alu 0xfffd
	v_cndmask_b32_e64 v3, 0, 1, vcc_lo
	s_cbranch_scc1 .LBB2_77
; %bb.75:
	s_xor_b32 s42, s39, 0x80000000
	s_add_nc_u64 s[22:23], s[18:19], s[26:27]
	v_cmp_lt_f32_e64 s0, s42, v6
	s_add_nc_u64 s[22:23], s[28:29], s[22:23]
	s_wait_alu 0xfffe
	s_mov_b64 s[40:41], s[16:17]
	s_add_nc_u64 s[22:23], s[22:23], 4
	s_mov_b32 s43, s33
	s_and_b32 s0, vcc_lo, s0
	s_delay_alu instid0(SALU_CYCLE_1)
	v_cndmask_b32_e64 v6, v6, s42, s0
.LBB2_76:                               ; =>This Inner Loop Header: Depth=1
	s_clause 0x1
	global_load_b32 v7, v5, s[40:41]
	global_load_b32 v8, v5, s[22:23]
	s_wait_alu 0xfffe
	s_add_co_i32 s43, s43, -1
	s_add_nc_u64 s[22:23], s[22:23], 4
	s_add_nc_u64 s[40:41], s[40:41], 4
	s_wait_loadcnt 0x1
	v_div_scale_f32 v9, null, v6, v6, v7
	v_div_scale_f32 v12, vcc_lo, v7, v6, v7
	s_wait_loadcnt 0x0
	v_sub_f32_e32 v8, v8, v1
	s_delay_alu instid0(VALU_DEP_3)
	v_rcp_f32_e32 v10, v9
	v_xor_b32_e32 v9, 0x80000000, v9
	s_delay_alu instid0(TRANS32_DEP_1) | instid1(VALU_DEP_1)
	v_fma_f32 v11, v9, v10, 1.0
	s_delay_alu instid0(VALU_DEP_1) | instskip(NEXT) | instid1(VALU_DEP_1)
	v_fmac_f32_e32 v10, v11, v10
	v_mul_f32_e32 v11, v12, v10
	s_delay_alu instid0(VALU_DEP_1) | instskip(NEXT) | instid1(VALU_DEP_1)
	v_fma_f32 v13, v9, v11, v12
	v_fmac_f32_e32 v11, v13, v10
	s_delay_alu instid0(VALU_DEP_1) | instskip(SKIP_1) | instid1(VALU_DEP_1)
	v_fmac_f32_e32 v12, v9, v11
	s_wait_alu 0xfffd
	v_div_fmas_f32 v9, v12, v10, v11
	s_delay_alu instid0(VALU_DEP_1) | instskip(NEXT) | instid1(VALU_DEP_1)
	v_div_fixup_f32 v6, v9, v6, v7
	v_sub_f32_e32 v6, v8, v6
	s_delay_alu instid0(VALU_DEP_1)
	v_cmp_ge_f32_e32 vcc_lo, s39, v6
	v_cmp_lt_f32_e64 s0, s42, v6
	s_wait_alu 0xfffd
	v_add_co_ci_u32_e64 v3, null, 0, v3, vcc_lo
	s_and_b32 s0, vcc_lo, s0
	s_wait_alu 0xfffe
	s_cmp_lg_u32 s43, 0
	v_cndmask_b32_e64 v6, v6, s42, s0
	s_cbranch_scc1 .LBB2_76
.LBB2_77:
	v_add_f32_e32 v2, v4, v2
	s_wait_alu 0xfffe
	s_and_not1_b32 vcc_lo, exec_lo, s9
	s_delay_alu instid0(VALU_DEP_1) | instskip(NEXT) | instid1(VALU_DEP_1)
	v_sub_f32_e32 v5, v4, v2
	v_cmp_ge_f32_e64 s0, s39, v5
	s_wait_alu 0xf1ff
	s_delay_alu instid0(VALU_DEP_1)
	v_cndmask_b32_e64 v4, 0, 1, s0
	s_wait_alu 0xfffe
	s_cbranch_vccnz .LBB2_80
; %bb.78:
	s_xor_b32 s9, s39, 0x80000000
	s_add_nc_u64 s[22:23], s[18:19], s[26:27]
	s_wait_alu 0xfffe
	v_cmp_lt_f32_e32 vcc_lo, s9, v5
	s_add_nc_u64 s[22:23], s[28:29], s[22:23]
	s_mov_b64 s[40:41], s[16:17]
	s_add_nc_u64 s[22:23], s[22:23], 4
	s_mov_b32 s42, s33
	s_and_b32 s0, s0, vcc_lo
	s_wait_alu 0xfffe
	v_cndmask_b32_e64 v6, v5, s9, s0
	v_mov_b32_e32 v5, 0
.LBB2_79:                               ; =>This Inner Loop Header: Depth=1
	s_clause 0x1
	global_load_b32 v7, v5, s[40:41]
	global_load_b32 v8, v5, s[22:23]
	s_add_co_i32 s42, s42, -1
	s_add_nc_u64 s[22:23], s[22:23], 4
	s_add_nc_u64 s[40:41], s[40:41], 4
	s_wait_loadcnt 0x1
	v_div_scale_f32 v9, null, v6, v6, v7
	v_div_scale_f32 v12, vcc_lo, v7, v6, v7
	s_wait_loadcnt 0x0
	v_sub_f32_e32 v8, v8, v2
	s_delay_alu instid0(VALU_DEP_3)
	v_rcp_f32_e32 v10, v9
	v_xor_b32_e32 v9, 0x80000000, v9
	s_delay_alu instid0(TRANS32_DEP_1) | instid1(VALU_DEP_1)
	v_fma_f32 v11, v9, v10, 1.0
	s_delay_alu instid0(VALU_DEP_1) | instskip(NEXT) | instid1(VALU_DEP_1)
	v_fmac_f32_e32 v10, v11, v10
	v_mul_f32_e32 v11, v12, v10
	s_delay_alu instid0(VALU_DEP_1) | instskip(NEXT) | instid1(VALU_DEP_1)
	v_fma_f32 v13, v9, v11, v12
	v_fmac_f32_e32 v11, v13, v10
	s_delay_alu instid0(VALU_DEP_1) | instskip(SKIP_1) | instid1(VALU_DEP_1)
	v_fmac_f32_e32 v12, v9, v11
	s_wait_alu 0xfffd
	v_div_fmas_f32 v9, v12, v10, v11
	s_delay_alu instid0(VALU_DEP_1) | instskip(NEXT) | instid1(VALU_DEP_1)
	v_div_fixup_f32 v6, v9, v6, v7
	v_sub_f32_e32 v6, v8, v6
	s_delay_alu instid0(VALU_DEP_1)
	v_cmp_ge_f32_e32 vcc_lo, s39, v6
	v_cmp_lt_f32_e64 s0, s9, v6
	s_wait_alu 0xfffd
	v_add_co_ci_u32_e64 v4, null, 0, v4, vcc_lo
	s_and_b32 s0, vcc_lo, s0
	s_wait_alu 0xfffe
	s_cmp_lg_u32 s42, 0
	v_cndmask_b32_e64 v6, v6, s9, s0
	s_cbranch_scc1 .LBB2_79
.LBB2_80:
	v_mov_b32_e32 v5, 0
	s_clause 0x1
	global_store_b64 v5, v[1:2], s[6:7]
	global_store_b64 v5, v[3:4], s[10:11]
.LBB2_81:
	s_or_b32 exec_lo, exec_lo, s1
	v_add_nc_u32_e32 v0, 1, v0
	s_mov_b32 s9, exec_lo
	s_delay_alu instid0(VALU_DEP_1)
	v_cmpx_gt_i32_e64 s33, v0
	s_cbranch_execz .LBB2_88
; %bb.82:
	s_add_nc_u64 s[0:1], s[18:19], s[26:27]
	v_mov_b32_e32 v1, 0
	s_wait_alu 0xfffe
	s_add_nc_u64 s[0:1], s[28:29], s[0:1]
	s_mov_b32 s42, 0
	s_wait_alu 0xfffe
	s_add_nc_u64 s[22:23], s[0:1], 4
.LBB2_83:                               ; =>This Loop Header: Depth=1
                                        ;     Child Loop BB2_84 Depth 2
                                        ;     Child Loop BB2_86 Depth 2
	v_lshlrev_b64_e32 v[2:3], 2, v[0:1]
	s_mov_b32 s43, 1
	s_mov_b64 s[40:41], s[22:23]
	s_delay_alu instid0(VALU_DEP_1) | instskip(SKIP_1) | instid1(VALU_DEP_2)
	v_add_co_u32 v4, vcc_lo, s12, v2
	s_wait_alu 0xfffd
	v_add_co_ci_u32_e64 v5, null, s13, v3, vcc_lo
	v_add_co_u32 v2, vcc_lo, s30, v2
	s_wait_alu 0xfffd
	v_add_co_ci_u32_e64 v3, null, s31, v3, vcc_lo
	global_load_b64 v[6:7], v[4:5], off offset:-4
	s_clause 0x1
	global_load_b32 v3, v[2:3], off
	global_load_b32 v5, v1, s[30:31]
	s_wait_loadcnt 0x2
	v_add_f32_e64 v6, |v7|, |v6|
	s_wait_loadcnt 0x1
	s_delay_alu instid0(VALU_DEP_1) | instskip(SKIP_1) | instid1(VALU_DEP_1)
	v_sub_f32_e32 v2, v3, v6
	s_wait_loadcnt 0x0
	v_sub_f32_e32 v7, v5, v2
	s_delay_alu instid0(VALU_DEP_1)
	v_cmp_gt_f32_e64 s0, v7, -s39
	v_cmp_ge_f32_e32 vcc_lo, s39, v7
	s_and_b32 s0, vcc_lo, s0
	v_cndmask_b32_e64 v4, 0, 1, vcc_lo
	s_wait_alu 0xfffe
	v_cndmask_b32_e64 v7, v7, -s39, s0
	s_mov_b64 s[0:1], s[16:17]
.LBB2_84:                               ;   Parent Loop BB2_83 Depth=1
                                        ; =>  This Inner Loop Header: Depth=2
	s_clause 0x1
	global_load_b32 v8, v1, s[0:1]
	global_load_b32 v9, v1, s[40:41]
	s_add_co_i32 s43, s43, 1
	s_add_nc_u64 s[40:41], s[40:41], 4
	s_wait_alu 0xfffe
	s_add_nc_u64 s[0:1], s[0:1], 4
	s_wait_loadcnt 0x1
	v_div_scale_f32 v10, null, v7, v7, v8
	v_div_scale_f32 v13, vcc_lo, v8, v7, v8
	s_wait_loadcnt 0x0
	v_sub_f32_e32 v9, v9, v2
	s_delay_alu instid0(VALU_DEP_3) | instskip(NEXT) | instid1(TRANS32_DEP_1)
	v_rcp_f32_e32 v11, v10
	v_fma_f32 v12, -v10, v11, 1.0
	s_delay_alu instid0(VALU_DEP_1) | instskip(NEXT) | instid1(VALU_DEP_1)
	v_fmac_f32_e32 v11, v12, v11
	v_mul_f32_e32 v12, v13, v11
	s_delay_alu instid0(VALU_DEP_1) | instskip(NEXT) | instid1(VALU_DEP_1)
	v_fma_f32 v14, -v10, v12, v13
	v_fmac_f32_e32 v12, v14, v11
	s_delay_alu instid0(VALU_DEP_1) | instskip(SKIP_1) | instid1(VALU_DEP_1)
	v_fma_f32 v10, -v10, v12, v13
	s_wait_alu 0xfffd
	v_div_fmas_f32 v10, v10, v11, v12
	s_delay_alu instid0(VALU_DEP_1) | instskip(NEXT) | instid1(VALU_DEP_1)
	v_div_fixup_f32 v7, v10, v7, v8
	v_sub_f32_e32 v7, v9, v7
	s_delay_alu instid0(VALU_DEP_1)
	v_cmp_ge_f32_e32 vcc_lo, s39, v7
	v_cmp_gt_f32_e64 s44, v7, -s39
	s_wait_alu 0xfffd
	v_add_co_ci_u32_e64 v4, null, 0, v4, vcc_lo
	s_and_b32 s44, vcc_lo, s44
	s_cmp_lg_u32 s25, s43
	s_wait_alu 0xfffe
	v_cndmask_b32_e64 v7, v7, -s39, s44
	s_cbranch_scc1 .LBB2_84
; %bb.85:                               ;   in Loop: Header=BB2_83 Depth=1
	v_add_f32_e32 v3, v3, v6
	s_mov_b64 s[40:41], s[22:23]
	s_mov_b32 s43, s33
	s_delay_alu instid0(VALU_DEP_1) | instskip(NEXT) | instid1(VALU_DEP_1)
	v_sub_f32_e32 v6, v5, v3
	v_cmp_gt_f32_e64 s0, v6, -s39
	v_cmp_ge_f32_e32 vcc_lo, s39, v6
	s_and_b32 s0, vcc_lo, s0
	v_cndmask_b32_e64 v5, 0, 1, vcc_lo
	s_wait_alu 0xfffe
	v_cndmask_b32_e64 v6, v6, -s39, s0
	s_mov_b64 s[0:1], s[16:17]
.LBB2_86:                               ;   Parent Loop BB2_83 Depth=1
                                        ; =>  This Inner Loop Header: Depth=2
	s_clause 0x1
	global_load_b32 v7, v1, s[0:1]
	global_load_b32 v8, v1, s[40:41]
	s_add_co_i32 s43, s43, -1
	s_add_nc_u64 s[40:41], s[40:41], 4
	s_wait_alu 0xfffe
	s_add_nc_u64 s[0:1], s[0:1], 4
	s_wait_loadcnt 0x1
	v_div_scale_f32 v9, null, v6, v6, v7
	v_div_scale_f32 v12, vcc_lo, v7, v6, v7
	s_wait_loadcnt 0x0
	v_sub_f32_e32 v8, v8, v3
	s_delay_alu instid0(VALU_DEP_3) | instskip(NEXT) | instid1(TRANS32_DEP_1)
	v_rcp_f32_e32 v10, v9
	v_fma_f32 v11, -v9, v10, 1.0
	s_delay_alu instid0(VALU_DEP_1) | instskip(NEXT) | instid1(VALU_DEP_1)
	v_fmac_f32_e32 v10, v11, v10
	v_mul_f32_e32 v11, v12, v10
	s_delay_alu instid0(VALU_DEP_1) | instskip(NEXT) | instid1(VALU_DEP_1)
	v_fma_f32 v13, -v9, v11, v12
	v_fmac_f32_e32 v11, v13, v10
	s_delay_alu instid0(VALU_DEP_1) | instskip(SKIP_1) | instid1(VALU_DEP_1)
	v_fma_f32 v9, -v9, v11, v12
	s_wait_alu 0xfffd
	v_div_fmas_f32 v9, v9, v10, v11
	s_delay_alu instid0(VALU_DEP_1) | instskip(NEXT) | instid1(VALU_DEP_1)
	v_div_fixup_f32 v6, v9, v6, v7
	v_sub_f32_e32 v6, v8, v6
	s_delay_alu instid0(VALU_DEP_1)
	v_cmp_ge_f32_e32 vcc_lo, s39, v6
	v_cmp_gt_f32_e64 s44, v6, -s39
	s_wait_alu 0xfffd
	v_add_co_ci_u32_e64 v5, null, 0, v5, vcc_lo
	s_and_b32 s44, vcc_lo, s44
	s_cmp_lg_u32 s43, 0
	s_wait_alu 0xfffe
	v_cndmask_b32_e64 v6, v6, -s39, s44
	s_cbranch_scc1 .LBB2_86
; %bb.87:                               ;   in Loop: Header=BB2_83 Depth=1
	v_dual_mov_b32 v7, v1 :: v_dual_lshlrev_b32 v6, 1, v0
	v_add_nc_u32_e32 v0, 0x100, v0
	s_delay_alu instid0(VALU_DEP_2) | instskip(NEXT) | instid1(VALU_DEP_2)
	v_lshlrev_b64_e32 v[6:7], 2, v[6:7]
	v_cmp_le_i32_e32 vcc_lo, s33, v0
	s_or_b32 s42, vcc_lo, s42
	s_delay_alu instid0(VALU_DEP_2) | instskip(SKIP_1) | instid1(VALU_DEP_3)
	v_add_co_u32 v8, s0, s6, v6
	s_wait_alu 0xf1ff
	v_add_co_ci_u32_e64 v9, null, s7, v7, s0
	v_add_co_u32 v6, s0, s10, v6
	s_wait_alu 0xf1ff
	v_add_co_ci_u32_e64 v7, null, s11, v7, s0
	global_store_b64 v[8:9], v[2:3], off
	global_store_b64 v[6:7], v[4:5], off
	s_wait_alu 0xfffe
	s_and_not1_b32 exec_lo, exec_lo, s42
	s_cbranch_execnz .LBB2_83
.LBB2_88:
	s_wait_alu 0xfffe
	s_or_b32 exec_lo, exec_lo, s9
	s_and_saveexec_b32 s1, s3
	s_cbranch_execz .LBB2_96
; %bb.89:
	s_ashr_i32 s23, s25, 31
	s_mov_b32 s22, s25
	v_mov_b32_e32 v5, 0
	s_lshl_b64 s[22:23], s[22:23], 2
	s_cmp_gt_i32 s25, 1
	s_add_nc_u64 s[12:13], s[12:13], s[22:23]
	s_cselect_b32 s3, -1, 0
	global_load_b32 v0, v5, s[12:13] offset:-8
	s_add_nc_u64 s[12:13], s[30:31], s[22:23]
	s_cmp_lt_i32 s25, 2
	s_wait_loadcnt 0x0
	v_and_b32_e32 v4, 0x7fffffff, v0
	s_clause 0x1
	global_load_b32 v1, v5, s[12:13] offset:-4
	global_load_b32 v3, v5, s[30:31]
	s_wait_loadcnt 0x1
	v_sub_f32_e32 v0, v1, v4
	s_wait_loadcnt 0x0
	s_delay_alu instid0(VALU_DEP_1) | instskip(NEXT) | instid1(VALU_DEP_1)
	v_sub_f32_e32 v6, v3, v0
	v_cmp_ge_f32_e32 vcc_lo, s39, v6
	s_wait_alu 0xfffd
	v_cndmask_b32_e64 v2, 0, 1, vcc_lo
	s_cbranch_scc1 .LBB2_92
; %bb.90:
	s_xor_b32 s9, s39, 0x80000000
	s_add_nc_u64 s[12:13], s[18:19], s[26:27]
	s_wait_alu 0xfffe
	v_cmp_lt_f32_e64 s0, s9, v6
	s_add_nc_u64 s[12:13], s[28:29], s[12:13]
	s_mov_b64 s[22:23], s[16:17]
	s_wait_alu 0xfffe
	s_add_nc_u64 s[12:13], s[12:13], 4
	s_mov_b32 s30, s33
	s_and_b32 s0, vcc_lo, s0
	s_wait_alu 0xfffe
	v_cndmask_b32_e64 v6, v6, s9, s0
.LBB2_91:                               ; =>This Inner Loop Header: Depth=1
	s_clause 0x1
	global_load_b32 v7, v5, s[22:23]
	global_load_b32 v8, v5, s[12:13]
	s_add_co_i32 s30, s30, -1
	s_add_nc_u64 s[12:13], s[12:13], 4
	s_add_nc_u64 s[22:23], s[22:23], 4
	s_wait_loadcnt 0x1
	v_div_scale_f32 v9, null, v6, v6, v7
	v_div_scale_f32 v12, vcc_lo, v7, v6, v7
	s_wait_loadcnt 0x0
	v_sub_f32_e32 v8, v8, v0
	s_delay_alu instid0(VALU_DEP_3)
	v_rcp_f32_e32 v10, v9
	v_xor_b32_e32 v9, 0x80000000, v9
	s_delay_alu instid0(TRANS32_DEP_1) | instid1(VALU_DEP_1)
	v_fma_f32 v11, v9, v10, 1.0
	s_delay_alu instid0(VALU_DEP_1) | instskip(NEXT) | instid1(VALU_DEP_1)
	v_fmac_f32_e32 v10, v11, v10
	v_mul_f32_e32 v11, v12, v10
	s_delay_alu instid0(VALU_DEP_1) | instskip(NEXT) | instid1(VALU_DEP_1)
	v_fma_f32 v13, v9, v11, v12
	v_fmac_f32_e32 v11, v13, v10
	s_delay_alu instid0(VALU_DEP_1) | instskip(SKIP_1) | instid1(VALU_DEP_1)
	v_fmac_f32_e32 v12, v9, v11
	s_wait_alu 0xfffd
	v_div_fmas_f32 v9, v12, v10, v11
	s_delay_alu instid0(VALU_DEP_1) | instskip(NEXT) | instid1(VALU_DEP_1)
	v_div_fixup_f32 v6, v9, v6, v7
	v_sub_f32_e32 v6, v8, v6
	s_delay_alu instid0(VALU_DEP_1)
	v_cmp_ge_f32_e32 vcc_lo, s39, v6
	v_cmp_lt_f32_e64 s0, s9, v6
	s_wait_alu 0xfffd
	v_add_co_ci_u32_e64 v2, null, 0, v2, vcc_lo
	s_and_b32 s0, vcc_lo, s0
	s_wait_alu 0xfffe
	s_cmp_lg_u32 s30, 0
	v_cndmask_b32_e64 v6, v6, s9, s0
	s_cbranch_scc1 .LBB2_91
.LBB2_92:
	v_add_f32_e32 v1, v1, v4
	s_wait_alu 0xfffe
	s_and_not1_b32 vcc_lo, exec_lo, s3
	s_delay_alu instid0(VALU_DEP_1) | instskip(NEXT) | instid1(VALU_DEP_1)
	v_sub_f32_e32 v4, v3, v1
	v_cmp_ge_f32_e64 s0, s39, v4
	s_wait_alu 0xf1ff
	s_delay_alu instid0(VALU_DEP_1)
	v_cndmask_b32_e64 v3, 0, 1, s0
	s_wait_alu 0xfffe
	s_cbranch_vccnz .LBB2_95
; %bb.93:
	s_xor_b32 s3, s39, 0x80000000
	s_add_nc_u64 s[12:13], s[18:19], s[26:27]
	s_wait_alu 0xfffe
	v_cmp_lt_f32_e32 vcc_lo, s3, v4
	s_add_nc_u64 s[12:13], s[28:29], s[12:13]
	s_wait_alu 0xfffe
	s_add_nc_u64 s[12:13], s[12:13], 4
	s_and_b32 s0, s0, vcc_lo
	s_wait_alu 0xfffe
	v_cndmask_b32_e64 v5, v4, s3, s0
	v_mov_b32_e32 v4, 0
.LBB2_94:                               ; =>This Inner Loop Header: Depth=1
	s_clause 0x1
	global_load_b32 v6, v4, s[16:17]
	global_load_b32 v7, v4, s[12:13]
	s_add_co_i32 s33, s33, -1
	s_add_nc_u64 s[12:13], s[12:13], 4
	s_add_nc_u64 s[16:17], s[16:17], 4
	s_wait_loadcnt 0x1
	v_div_scale_f32 v8, null, v5, v5, v6
	v_div_scale_f32 v11, vcc_lo, v6, v5, v6
	s_wait_loadcnt 0x0
	v_sub_f32_e32 v7, v7, v1
	s_delay_alu instid0(VALU_DEP_3)
	v_rcp_f32_e32 v9, v8
	v_xor_b32_e32 v8, 0x80000000, v8
	s_delay_alu instid0(TRANS32_DEP_1) | instid1(VALU_DEP_1)
	v_fma_f32 v10, v8, v9, 1.0
	s_delay_alu instid0(VALU_DEP_1) | instskip(NEXT) | instid1(VALU_DEP_1)
	v_fmac_f32_e32 v9, v10, v9
	v_mul_f32_e32 v10, v11, v9
	s_delay_alu instid0(VALU_DEP_1) | instskip(NEXT) | instid1(VALU_DEP_1)
	v_fma_f32 v12, v8, v10, v11
	v_fmac_f32_e32 v10, v12, v9
	s_delay_alu instid0(VALU_DEP_1) | instskip(SKIP_1) | instid1(VALU_DEP_1)
	v_fmac_f32_e32 v11, v8, v10
	s_wait_alu 0xfffd
	v_div_fmas_f32 v8, v11, v9, v10
	s_delay_alu instid0(VALU_DEP_1) | instskip(NEXT) | instid1(VALU_DEP_1)
	v_div_fixup_f32 v5, v8, v5, v6
	v_sub_f32_e32 v5, v7, v5
	s_delay_alu instid0(VALU_DEP_1)
	v_cmp_ge_f32_e32 vcc_lo, s39, v5
	v_cmp_lt_f32_e64 s0, s3, v5
	s_wait_alu 0xfffd
	v_add_co_ci_u32_e64 v3, null, 0, v3, vcc_lo
	s_and_b32 s0, vcc_lo, s0
	s_wait_alu 0xfffe
	s_cmp_lg_u32 s33, 0
	v_cndmask_b32_e64 v5, v5, s3, s0
	s_cbranch_scc1 .LBB2_94
.LBB2_95:
	s_ashr_i32 s9, s8, 31
	v_mov_b32_e32 v4, 0
	s_wait_alu 0xfffe
	s_lshl_b64 s[12:13], s[8:9], 2
	s_wait_alu 0xfffe
	s_add_nc_u64 s[16:17], s[6:7], s[12:13]
	s_add_nc_u64 s[12:13], s[10:11], s[12:13]
	s_clause 0x1
	global_store_b64 v4, v[0:1], s[16:17] offset:-8
	global_store_b64 v4, v[2:3], s[12:13] offset:-8
.LBB2_96:
	s_wait_alu 0xfffe
	s_or_b32 exec_lo, exec_lo, s1
	s_mov_b32 s9, 0
	s_wait_loadcnt 0x0
	s_wait_storecnt 0x0
	s_barrier_signal -1
	s_barrier_wait -1
	global_inv scope:SCOPE_SE
                                        ; implicit-def: $vgpr2
                                        ; implicit-def: $vgpr1
	s_and_saveexec_b32 s3, s2
	s_cbranch_execz .LBB2_120
; %bb.97:
	s_cmp_gt_i32 s25, 0
	s_mov_b32 s0, 1
	s_cselect_b32 s26, -1, 0
	s_cmp_lt_i32 s25, 1
	s_cbranch_scc1 .LBB2_105
; %bb.98:
	v_mov_b32_e32 v0, 0
	s_cmp_lg_u64 s[14:15], 0
	s_add_nc_u64 s[12:13], s[6:7], 4
	s_cselect_b32 s9, -1, 0
	s_branch .LBB2_100
.LBB2_99:                               ;   in Loop: Header=BB2_100 Depth=1
	s_add_co_i32 s0, s0, 1
	s_add_nc_u64 s[12:13], s[12:13], 4
	s_wait_alu 0xfffe
	s_cmp_lg_u32 s0, s8
	s_cbranch_scc0 .LBB2_105
.LBB2_100:                              ; =>This Loop Header: Depth=1
                                        ;     Child Loop BB2_101 Depth 2
	s_wait_alu 0xfffe
	s_ashr_i32 s1, s0, 31
	s_add_co_i32 s19, s0, -1
	s_wait_alu 0xfffe
	s_lshl_b64 s[14:15], s[0:1], 2
	s_mov_b64 s[22:23], s[12:13]
	s_add_nc_u64 s[16:17], s[6:7], s[14:15]
	s_mov_b32 s28, s0
	global_load_b32 v1, v0, s[16:17] offset:-4
	s_mov_b32 s18, s19
	s_wait_loadcnt 0x0
	v_readfirstlane_b32 s1, v1
	s_mov_b32 s27, s1
.LBB2_101:                              ;   Parent Loop BB2_100 Depth=1
                                        ; =>  This Inner Loop Header: Depth=2
	global_load_b32 v1, v0, s[22:23]
	s_add_nc_u64 s[22:23], s[22:23], 4
	s_wait_loadcnt 0x0
	v_readfirstlane_b32 s29, v1
	s_wait_alu 0xfffe
	s_cmp_lt_f32 s29, s27
	s_cselect_b32 s27, s29, s27
	s_cselect_b32 s18, s28, s18
	s_add_co_i32 s28, s28, 1
	s_delay_alu instid0(SALU_CYCLE_1)
	s_cmp_eq_u32 s8, s28
	s_cbranch_scc0 .LBB2_101
; %bb.102:                              ;   in Loop: Header=BB2_100 Depth=1
	s_cmp_lg_u32 s18, s19
	s_cbranch_scc0 .LBB2_99
; %bb.103:                              ;   in Loop: Header=BB2_100 Depth=1
	s_ashr_i32 s19, s18, 31
	s_wait_alu 0xfffe
	v_dual_mov_b32 v1, s1 :: v_dual_mov_b32 v2, s27
	s_lshl_b64 s[18:19], s[18:19], 2
	s_and_not1_b32 vcc_lo, exec_lo, s9
	s_add_nc_u64 s[22:23], s[6:7], s[18:19]
	s_clause 0x1
	global_store_b32 v0, v1, s[22:23]
	global_store_b32 v0, v2, s[16:17] offset:-4
	s_wait_alu 0xfffe
	s_cbranch_vccnz .LBB2_99
; %bb.104:                              ;   in Loop: Header=BB2_100 Depth=1
	s_add_nc_u64 s[14:15], s[10:11], s[14:15]
	s_add_nc_u64 s[16:17], s[10:11], s[18:19]
	s_clause 0x1
	global_load_b32 v1, v0, s[14:15] offset:-4
	global_load_b32 v2, v0, s[16:17]
	s_wait_loadcnt 0x1
	global_store_b32 v0, v1, s[16:17]
	s_wait_loadcnt 0x0
	global_store_b32 v0, v2, s[14:15] offset:-4
	s_branch .LBB2_99
.LBB2_105:
	s_ashr_i32 s9, s8, 31
	s_wait_alu 0xfffe
	s_lshl_b64 s[0:1], s[8:9], 2
	s_cvt_f32_i32 s9, s25
	v_mov_b32_e32 v0, 0
	s_wait_alu 0xfffe
	s_add_nc_u64 s[0:1], s[6:7], s[0:1]
	s_clause 0x1
	global_load_b32 v1, v0, s[6:7]
	global_load_b32 v3, v0, s[0:1] offset:-4
	s_wait_loadcnt 0x1
	v_and_b32_e32 v2, 0x7fffffff, v1
	s_wait_loadcnt 0x0
	v_and_b32_e32 v4, 0x7fffffff, v3
	s_delay_alu instid0(VALU_DEP_1) | instskip(SKIP_3) | instid1(VALU_DEP_1)
	v_cmp_lt_f32_e32 vcc_lo, v2, v4
	s_wait_alu 0xfffd
	v_cndmask_b32_e32 v2, v1, v3, vcc_lo
	s_and_not1_b32 vcc_lo, exec_lo, s26
	v_and_b32_e32 v2, 0x7fffffff, v2
	s_delay_alu instid0(VALU_DEP_1) | instskip(SKIP_1) | instid1(VALU_DEP_2)
	v_mul_f32_e32 v4, s38, v2
	v_cndmask_b32_e64 v2, 0, 1, s26
	v_xor_b32_e32 v5, 0x80000000, v4
	v_fmac_f32_e32 v3, s9, v4
	s_delay_alu instid0(VALU_DEP_2) | instskip(NEXT) | instid1(VALU_DEP_2)
	v_fmac_f32_e32 v1, s9, v5
	v_add_f32_e32 v3, s39, v3
	s_delay_alu instid0(VALU_DEP_2)
	v_subrev_f32_e32 v1, s39, v1
	s_clause 0x1
	global_store_b32 v0, v1, s[6:7]
	global_store_b32 v0, v3, s[0:1] offset:-4
	s_wait_alu 0xfffe
	s_cbranch_vccnz .LBB2_111
; %bb.106:
	s_max_i32 s9, s8, 2
	s_add_nc_u64 s[0:1], s[10:11], 4
	s_wait_alu 0xfffe
	s_add_co_i32 s9, s9, -1
	s_mov_b32 s13, 0
	s_branch .LBB2_108
.LBB2_107:                              ;   in Loop: Header=BB2_108 Depth=1
	s_wait_alu 0xfffe
	s_add_co_i32 s13, s13, 1
	s_add_nc_u64 s[0:1], s[0:1], 4
	s_wait_alu 0xfffe
	s_cmp_eq_u32 s9, s13
	s_mov_b32 s12, s9
	s_cselect_b32 s14, -1, 0
	s_delay_alu instid0(SALU_CYCLE_1)
	s_and_not1_b32 vcc_lo, exec_lo, s14
	s_wait_alu 0xfffe
	s_cbranch_vccz .LBB2_110
.LBB2_108:                              ; =>This Inner Loop Header: Depth=1
	global_load_b32 v1, v0, s[0:1]
	s_wait_loadcnt 0x0
	v_cmp_le_i32_e32 vcc_lo, s34, v1
	s_cbranch_vccz .LBB2_107
; %bb.109:
	s_wait_alu 0xfffe
	s_mov_b32 s12, s13
                                        ; implicit-def: $sgpr0_sgpr1
.LBB2_110:
	s_mov_b32 s13, 0
	s_branch .LBB2_112
.LBB2_111:
	s_mov_b64 s[12:13], 0
.LBB2_112:
	v_mov_b32_e32 v0, 0
	s_wait_alu 0xfffe
	s_lshl_b64 s[0:1], s[12:13], 2
	v_cmp_ne_u32_e32 vcc_lo, 1, v2
	s_wait_alu 0xfffe
	s_add_nc_u64 s[0:1], s[6:7], s[0:1]
	global_load_b32 v1, v0, s[0:1]
	s_mov_b32 s1, 1
	s_cbranch_vccnz .LBB2_118
; %bb.113:
	s_max_i32 s12, s8, 2
	s_add_nc_u64 s[8:9], s[10:11], 4
	s_wait_alu 0xfffe
	s_add_co_i32 s13, s12, -1
	s_branch .LBB2_115
.LBB2_114:
	s_mov_b32 s0, s1
                                        ; implicit-def: $sgpr8_sgpr9
	s_branch .LBB2_117
.LBB2_115:                              ; =>This Inner Loop Header: Depth=1
	global_load_b32 v2, v0, s[8:9]
	s_wait_loadcnt 0x0
	v_cmp_gt_i32_e32 vcc_lo, s35, v2
	s_cbranch_vccz .LBB2_114
; %bb.116:                              ;   in Loop: Header=BB2_115 Depth=1
	s_add_co_i32 s1, s1, 1
	s_add_nc_u64 s[8:9], s[8:9], 4
	s_wait_alu 0xfffe
	s_cmp_eq_u32 s12, s1
	s_mov_b32 s0, s13
	s_cselect_b32 s10, -1, 0
	s_wait_alu 0xfffe
	s_and_not1_b32 vcc_lo, exec_lo, s10
	s_wait_alu 0xfffe
	s_cbranch_vccnz .LBB2_115
.LBB2_117:
	s_wait_alu 0xfffe
	s_ashr_i32 s1, s0, 31
	s_branch .LBB2_119
.LBB2_118:
	s_mov_b64 s[0:1], 0
.LBB2_119:
	v_mov_b32_e32 v0, 0
	s_wait_alu 0xfffe
	s_lshl_b64 s[0:1], s[0:1], 2
	s_mov_b32 s9, exec_lo
	s_wait_alu 0xfffe
	s_add_nc_u64 s[0:1], s[6:7], s[0:1]
	global_load_b32 v2, v0, s[0:1]
.LBB2_120:
	s_wait_alu 0xfffe
	s_or_b32 exec_lo, exec_lo, s3
.LBB2_121:
	s_wait_alu 0xfffe
	s_and_saveexec_b32 s0, s9
	s_cbranch_execz .LBB2_124
; %bb.122:
	s_and_b32 exec_lo, exec_lo, s2
	s_cbranch_execz .LBB2_124
; %bb.123:
	s_wait_alu 0xfffe
	s_lshl_b32 s0, ttmp7, 1
	s_lshl_b64 s[2:3], s[36:37], 2
	s_wait_alu 0xfffe
	s_ashr_i32 s1, s0, 31
	v_dual_mov_b32 v0, 0 :: v_dual_mov_b32 v3, s39
	s_wait_alu 0xfffe
	s_lshl_b64 s[0:1], s[0:1], 2
	s_cmp_eq_u32 s24, 0xe7
	s_add_nc_u64 s[2:3], s[20:21], s[2:3]
	s_wait_kmcnt 0x0
	s_cselect_b32 s6, -1, 0
	s_wait_alu 0xfffe
	s_add_nc_u64 s[0:1], s[4:5], s[0:1]
	s_wait_loadcnt 0x0
	v_cndmask_b32_e64 v2, v2, 0, s6
	v_cndmask_b32_e64 v1, v1, 0, s6
	s_clause 0x1
	global_store_b32 v0, v3, s[2:3]
	global_store_b64 v0, v[1:2], s[0:1]
.LBB2_124:
	s_endpgm
	.section	.rodata,"a",@progbits
	.p2align	6, 0x0
	.amdhsa_kernel _ZN9rocsolver6v33100L22stebz_splitting_kernelIfPfEEv15rocblas_erange_iT_S4_iiT0_iiS5_iiPiPS4_lS6_lS6_S7_S7_S7_S7_S6_S4_S4_
		.amdhsa_group_segment_fixed_size 2048
		.amdhsa_private_segment_fixed_size 0
		.amdhsa_kernarg_size 152
		.amdhsa_user_sgpr_count 2
		.amdhsa_user_sgpr_dispatch_ptr 0
		.amdhsa_user_sgpr_queue_ptr 0
		.amdhsa_user_sgpr_kernarg_segment_ptr 1
		.amdhsa_user_sgpr_dispatch_id 0
		.amdhsa_user_sgpr_private_segment_size 0
		.amdhsa_wavefront_size32 1
		.amdhsa_uses_dynamic_stack 0
		.amdhsa_enable_private_segment 0
		.amdhsa_system_sgpr_workgroup_id_x 1
		.amdhsa_system_sgpr_workgroup_id_y 1
		.amdhsa_system_sgpr_workgroup_id_z 0
		.amdhsa_system_sgpr_workgroup_info 0
		.amdhsa_system_vgpr_workitem_id 0
		.amdhsa_next_free_vgpr 20
		.amdhsa_next_free_sgpr 54
		.amdhsa_reserve_vcc 1
		.amdhsa_float_round_mode_32 0
		.amdhsa_float_round_mode_16_64 0
		.amdhsa_float_denorm_mode_32 3
		.amdhsa_float_denorm_mode_16_64 3
		.amdhsa_fp16_overflow 0
		.amdhsa_workgroup_processor_mode 1
		.amdhsa_memory_ordered 1
		.amdhsa_forward_progress 1
		.amdhsa_inst_pref_size 52
		.amdhsa_round_robin_scheduling 0
		.amdhsa_exception_fp_ieee_invalid_op 0
		.amdhsa_exception_fp_denorm_src 0
		.amdhsa_exception_fp_ieee_div_zero 0
		.amdhsa_exception_fp_ieee_overflow 0
		.amdhsa_exception_fp_ieee_underflow 0
		.amdhsa_exception_fp_ieee_inexact 0
		.amdhsa_exception_int_div_zero 0
	.end_amdhsa_kernel
	.section	.text._ZN9rocsolver6v33100L22stebz_splitting_kernelIfPfEEv15rocblas_erange_iT_S4_iiT0_iiS5_iiPiPS4_lS6_lS6_S7_S7_S7_S7_S6_S4_S4_,"axG",@progbits,_ZN9rocsolver6v33100L22stebz_splitting_kernelIfPfEEv15rocblas_erange_iT_S4_iiT0_iiS5_iiPiPS4_lS6_lS6_S7_S7_S7_S7_S6_S4_S4_,comdat
.Lfunc_end2:
	.size	_ZN9rocsolver6v33100L22stebz_splitting_kernelIfPfEEv15rocblas_erange_iT_S4_iiT0_iiS5_iiPiPS4_lS6_lS6_S7_S7_S7_S7_S6_S4_S4_, .Lfunc_end2-_ZN9rocsolver6v33100L22stebz_splitting_kernelIfPfEEv15rocblas_erange_iT_S4_iiT0_iiS5_iiPiPS4_lS6_lS6_S7_S7_S7_S7_S6_S4_S4_
                                        ; -- End function
	.set _ZN9rocsolver6v33100L22stebz_splitting_kernelIfPfEEv15rocblas_erange_iT_S4_iiT0_iiS5_iiPiPS4_lS6_lS6_S7_S7_S7_S7_S6_S4_S4_.num_vgpr, 20
	.set _ZN9rocsolver6v33100L22stebz_splitting_kernelIfPfEEv15rocblas_erange_iT_S4_iiT0_iiS5_iiPiPS4_lS6_lS6_S7_S7_S7_S7_S6_S4_S4_.num_agpr, 0
	.set _ZN9rocsolver6v33100L22stebz_splitting_kernelIfPfEEv15rocblas_erange_iT_S4_iiT0_iiS5_iiPiPS4_lS6_lS6_S7_S7_S7_S7_S6_S4_S4_.numbered_sgpr, 54
	.set _ZN9rocsolver6v33100L22stebz_splitting_kernelIfPfEEv15rocblas_erange_iT_S4_iiT0_iiS5_iiPiPS4_lS6_lS6_S7_S7_S7_S7_S6_S4_S4_.num_named_barrier, 0
	.set _ZN9rocsolver6v33100L22stebz_splitting_kernelIfPfEEv15rocblas_erange_iT_S4_iiT0_iiS5_iiPiPS4_lS6_lS6_S7_S7_S7_S7_S6_S4_S4_.private_seg_size, 0
	.set _ZN9rocsolver6v33100L22stebz_splitting_kernelIfPfEEv15rocblas_erange_iT_S4_iiT0_iiS5_iiPiPS4_lS6_lS6_S7_S7_S7_S7_S6_S4_S4_.uses_vcc, 1
	.set _ZN9rocsolver6v33100L22stebz_splitting_kernelIfPfEEv15rocblas_erange_iT_S4_iiT0_iiS5_iiPiPS4_lS6_lS6_S7_S7_S7_S7_S6_S4_S4_.uses_flat_scratch, 0
	.set _ZN9rocsolver6v33100L22stebz_splitting_kernelIfPfEEv15rocblas_erange_iT_S4_iiT0_iiS5_iiPiPS4_lS6_lS6_S7_S7_S7_S7_S6_S4_S4_.has_dyn_sized_stack, 0
	.set _ZN9rocsolver6v33100L22stebz_splitting_kernelIfPfEEv15rocblas_erange_iT_S4_iiT0_iiS5_iiPiPS4_lS6_lS6_S7_S7_S7_S7_S6_S4_S4_.has_recursion, 0
	.set _ZN9rocsolver6v33100L22stebz_splitting_kernelIfPfEEv15rocblas_erange_iT_S4_iiT0_iiS5_iiPiPS4_lS6_lS6_S7_S7_S7_S7_S6_S4_S4_.has_indirect_call, 0
	.section	.AMDGPU.csdata,"",@progbits
; Kernel info:
; codeLenInByte = 6604
; TotalNumSgprs: 56
; NumVgprs: 20
; ScratchSize: 0
; MemoryBound: 0
; FloatMode: 240
; IeeeMode: 1
; LDSByteSize: 2048 bytes/workgroup (compile time only)
; SGPRBlocks: 0
; VGPRBlocks: 2
; NumSGPRsForWavesPerEU: 56
; NumVGPRsForWavesPerEU: 20
; Occupancy: 16
; WaveLimiterHint : 1
; COMPUTE_PGM_RSRC2:SCRATCH_EN: 0
; COMPUTE_PGM_RSRC2:USER_SGPR: 2
; COMPUTE_PGM_RSRC2:TRAP_HANDLER: 0
; COMPUTE_PGM_RSRC2:TGID_X_EN: 1
; COMPUTE_PGM_RSRC2:TGID_Y_EN: 1
; COMPUTE_PGM_RSRC2:TGID_Z_EN: 0
; COMPUTE_PGM_RSRC2:TIDIG_COMP_CNT: 0
	.section	.text._ZN9rocsolver6v33100L22stebz_bisection_kernelIfPfEEv15rocblas_erange_iT_T0_iiS5_iiPiPS4_lS6_lS6_lS6_S6_S7_S7_S7_S7_S6_S4_S4_,"axG",@progbits,_ZN9rocsolver6v33100L22stebz_bisection_kernelIfPfEEv15rocblas_erange_iT_T0_iiS5_iiPiPS4_lS6_lS6_lS6_S6_S7_S7_S7_S7_S6_S4_S4_,comdat
	.globl	_ZN9rocsolver6v33100L22stebz_bisection_kernelIfPfEEv15rocblas_erange_iT_T0_iiS5_iiPiPS4_lS6_lS6_lS6_S6_S7_S7_S7_S7_S6_S4_S4_ ; -- Begin function _ZN9rocsolver6v33100L22stebz_bisection_kernelIfPfEEv15rocblas_erange_iT_T0_iiS5_iiPiPS4_lS6_lS6_lS6_S6_S7_S7_S7_S7_S6_S4_S4_
	.p2align	8
	.type	_ZN9rocsolver6v33100L22stebz_bisection_kernelIfPfEEv15rocblas_erange_iT_T0_iiS5_iiPiPS4_lS6_lS6_lS6_S6_S7_S7_S7_S7_S6_S4_S4_,@function
_ZN9rocsolver6v33100L22stebz_bisection_kernelIfPfEEv15rocblas_erange_iT_T0_iiS5_iiPiPS4_lS6_lS6_lS6_S6_S7_S7_S7_S7_S6_S4_S4_: ; @_ZN9rocsolver6v33100L22stebz_bisection_kernelIfPfEEv15rocblas_erange_iT_T0_iiS5_iiPiPS4_lS6_lS6_lS6_S6_S7_S7_S7_S7_S6_S4_S4_
; %bb.0:
	s_load_b512 s[4:19], s[0:1], 0x30
	s_mov_b32 s34, ttmp7
	s_ashr_i32 s35, ttmp7, 31
	s_delay_alu instid0(SALU_CYCLE_1)
	s_lshl_b64 s[2:3], s[34:35], 2
	s_wait_kmcnt 0x0
	s_add_nc_u64 s[4:5], s[4:5], s[2:3]
	s_load_b32 s31, s[4:5], 0x0
	s_wait_kmcnt 0x0
	s_cmp_ge_i32 ttmp9, s31
	s_cbranch_scc1 .LBB3_85
; %bb.1:
	s_clause 0x2
	s_load_b256 s[20:27], s[0:1], 0x10
	s_load_b96 s[28:30], s[0:1], 0x0
	s_load_b256 s[36:43], s[0:1], 0x70
	s_mul_u64 s[8:9], s[8:9], s[34:35]
	s_mul_u64 s[12:13], s[12:13], s[34:35]
	s_lshl_b64 s[48:49], s[8:9], 2
	s_mul_u64 s[16:17], s[16:17], s[34:35]
	s_lshl_b64 s[12:13], s[12:13], 2
	s_lshl_b64 s[16:17], s[16:17], 2
	s_add_nc_u64 s[10:11], s[10:11], s[12:13]
	s_add_nc_u64 s[12:13], s[14:15], s[16:17]
	v_dual_mov_b32 v12, 0 :: v_dual_lshlrev_b32 v9, 4, v0
	v_lshl_or_b32 v10, v0, 2, 0x1000
	v_mov_b32_e32 v13, 1
	s_mov_b32 s4, ttmp9
	s_delay_alu instid0(VALU_DEP_3)
	v_or_b32_e32 v11, 0x800, v9
	s_add_nc_u64 s[6:7], s[6:7], s[48:49]
                                        ; implicit-def: $sgpr62
                                        ; implicit-def: $sgpr63
                                        ; implicit-def: $sgpr64
                                        ; implicit-def: $sgpr65
                                        ; implicit-def: $vgpr14
	s_wait_kmcnt 0x0
	s_ashr_i32 s9, s22, 31
	s_mov_b32 s8, s22
	s_ashr_i32 s45, s23, 31
	s_mov_b32 s44, s23
	;; [unrolled: 2-line block ×4, first 2 shown]
	s_add_nc_u64 s[26:27], s[38:39], s[2:3]
	s_add_co_i32 s5, s29, -1
	s_load_b32 s33, s[26:27], 0x0
	s_mul_u64 s[38:39], s[44:45], s[34:35]
	s_lshl_b64 s[50:51], s[8:9], 2
	s_mul_u64 s[8:9], s[46:47], s[34:35]
	s_mul_i32 s26, s29, ttmp7
	s_lshl_b64 s[52:53], s[22:23], 2
	s_mul_i32 s22, s5, ttmp7
	s_lshl_b64 s[34:35], s[38:39], 2
	s_lshl_b64 s[38:39], s[8:9], 2
	s_lshl_b32 s8, ttmp7, 1
	s_lshl_b32 s44, s26, 2
	s_ashr_i32 s23, s22, 31
	s_ashr_i32 s9, s8, 31
	s_ashr_i32 s45, s44, 31
	s_ashr_i32 s27, s26, 31
	s_lshl_b64 s[22:23], s[22:23], 2
	s_lshl_b64 s[54:55], s[8:9], 2
	;; [unrolled: 1-line block ×4, first 2 shown]
	s_cmp_lt_f32 s30, 0
	s_load_b128 s[44:47], s[0:1], 0x90
	s_add_nc_u64 s[8:9], s[18:19], s[2:3]
	s_add_nc_u64 s[14:15], s[42:43], s[54:55]
	s_cselect_b32 s58, -1, 0
	s_cmp_lg_u32 s28, 0xe7
	s_load_b32 s28, s[0:1], 0xa0
	s_cselect_b32 s59, -1, 0
	s_wait_kmcnt 0x0
	s_cmp_lt_f32 s33, 0x800000
	s_add_nc_u64 s[16:17], s[36:37], s[26:27]
	s_add_nc_u64 s[18:19], s[40:41], s[22:23]
	v_cmp_ne_u32_e64 s1, 0, v0
	s_cselect_b32 s0, 0x4f800000, 1.0
	s_cselect_b32 s42, 0x41b17218, 0
	s_mul_f32 s2, s33, s0
	v_cmp_eq_u32_e64 s0, 0, v0
	s_delay_alu instid0(SALU_CYCLE_2) | instskip(SKIP_2) | instid1(TRANS32_DEP_1)
	v_s_log_f32 s5, s2
	s_add_nc_u64 s[22:23], s[44:45], s[56:57]
	s_add_nc_u64 s[26:27], s[46:47], s[56:57]
	s_mul_f32 s2, s5, 0x3f317217
	s_and_b32 s41, s5, 0x7fffffff
	s_add_f32 s60, s28, s28
	s_wait_alu 0xfffe
	s_xor_b32 s2, s2, 0x80000000
	s_cmp_lt_f32 s41, 0x7f800000
	s_wait_alu 0xfffe
	s_fmamk_f32 s36, s5, 0x3f317217, s2
	s_add_nc_u64 s[2:3], s[20:21], s[34:35]
	s_delay_alu instid0(SALU_CYCLE_2)
	s_fmamk_f32 s40, s5, 0x3377d1cf, s36
	s_add_nc_u64 s[36:37], s[24:25], s[38:39]
	s_add_nc_u64 s[38:39], s[38:39], s[52:53]
	;; [unrolled: 1-line block ×3, first 2 shown]
	s_fmamk_f32 s43, s5, 0x3f317217, s40
	s_add_nc_u64 s[40:41], s[34:35], s[50:51]
	s_wait_alu 0xfffe
	s_add_nc_u64 s[34:35], s[2:3], s[50:51]
	s_add_nc_u64 s[2:3], s[20:21], s[40:41]
	s_cselect_b32 s5, s43, s5
	s_wait_alu 0xfffe
	s_add_nc_u64 s[20:21], s[2:3], 4
	s_sub_f32 s61, s5, s42
	s_add_nc_u64 s[2:3], s[24:25], s[38:39]
	s_mov_b32 s38, 0xfefa39ef
	s_wait_alu 0xfffe
	s_add_nc_u64 s[24:25], s[2:3], 4
	s_mov_b32 s39, 0x3fe62e42
	s_branch .LBB3_4
.LBB3_2:                                ;   in Loop: Header=BB3_4 Depth=1
	s_wait_alu 0xfffe
	s_or_b32 exec_lo, exec_lo, s5
	v_mov_b32_e32 v4, v14
	s_mov_b32 s54, s65
	s_mov_b32 s5, s64
	s_mov_b32 s55, s63
	s_mov_b32 s43, s62
.LBB3_3:                                ;   in Loop: Header=BB3_4 Depth=1
	v_mov_b32_e32 v14, v4
	s_add_co_i32 s4, s4, 64
	s_mov_b32 s62, s43
	s_wait_alu 0xfffe
	s_cmp_lt_i32 s4, s31
	s_mov_b32 s63, s55
	s_mov_b32 s64, s5
	;; [unrolled: 1-line block ×3, first 2 shown]
	s_wait_loadcnt 0x0
	s_wait_storecnt 0x0
	s_barrier_signal -1
	s_barrier_wait -1
	global_inv scope:SCOPE_SE
	s_cbranch_scc0 .LBB3_85
.LBB3_4:                                ; =>This Loop Header: Depth=1
                                        ;     Child Loop BB3_9 Depth 2
                                        ;     Child Loop BB3_20 Depth 2
	;; [unrolled: 1-line block ×4, first 2 shown]
                                        ;       Child Loop BB3_37 Depth 3
                                        ;         Child Loop BB3_40 Depth 4
                                        ;         Child Loop BB3_53 Depth 4
                                        ;     Child Loop BB3_69 Depth 2
                                        ;       Child Loop BB3_71 Depth 3
	s_ashr_i32 s5, s4, 31
	s_cmp_eq_u32 s4, 0
	s_mov_b32 s42, 0
	s_cbranch_scc1 .LBB3_6
; %bb.5:                                ;   in Loop: Header=BB3_4 Depth=1
	s_wait_alu 0xfffe
	s_lshl_b64 s[2:3], s[4:5], 2
	s_wait_alu 0xfffe
	s_add_nc_u64 s[2:3], s[12:13], s[2:3]
	global_load_b32 v1, v12, s[2:3] offset:-4
	s_wait_loadcnt 0x0
	v_readfirstlane_b32 s42, v1
.LBB3_6:                                ;   in Loop: Header=BB3_4 Depth=1
	s_wait_alu 0xfffe
	s_lshl_b64 s[40:41], s[4:5], 2
	s_delay_alu instid0(SALU_CYCLE_1)
	s_add_nc_u64 s[2:3], s[12:13], s[40:41]
	global_load_b32 v1, v12, s[2:3]
	s_wait_loadcnt 0x0
	v_readfirstlane_b32 s66, v1
	s_sub_co_i32 s48, s66, s42
	s_wait_alu 0xfffe
	s_cmp_lg_u32 s48, 1
	s_cbranch_scc0 .LBB3_63
; %bb.7:                                ;   in Loop: Header=BB3_4 Depth=1
	s_ashr_i32 s43, s42, 31
	s_delay_alu instid0(SALU_CYCLE_1)
	s_lshl_b64 s[50:51], s[42:43], 2
	s_wait_alu 0xfffe
	s_add_nc_u64 s[2:3], s[36:37], s[50:51]
	s_add_nc_u64 s[44:45], s[34:35], s[50:51]
	s_clause 0x1
	global_load_b32 v1, v12, s[2:3]
	global_load_b32 v5, v12, s[44:45]
	s_add_nc_u64 s[46:47], s[20:21], s[50:51]
	s_wait_loadcnt 0x1
	v_readfirstlane_b32 s2, v1
	s_wait_loadcnt 0x0
	v_readfirstlane_b32 s3, v5
	s_wait_alu 0xfffe
	s_and_b32 s54, s2, 0x7fffffff
	s_cmp_lt_i32 s48, 3
	s_wait_alu 0xfffe
	s_sub_f32 s43, s3, s54
	s_add_f32 s5, s3, s54
	s_cbranch_scc1 .LBB3_10
; %bb.8:                                ;   in Loop: Header=BB3_4 Depth=1
	s_add_co_i32 s49, s48, -2
	s_add_nc_u64 s[2:3], s[20:21], s[50:51]
	s_add_nc_u64 s[52:53], s[24:25], s[50:51]
.LBB3_9:                                ;   Parent Loop BB3_4 Depth=1
                                        ; =>  This Inner Loop Header: Depth=2
	s_clause 0x1
	global_load_b32 v1, v12, s[2:3]
	global_load_b32 v2, v12, s[52:53]
	s_mov_b32 s55, s54
	s_wait_alu 0xfffe
	s_add_nc_u64 s[2:3], s[2:3], 4
	s_add_nc_u64 s[52:53], s[52:53], 4
	s_wait_loadcnt 0x1
	v_readfirstlane_b32 s56, v1
	s_wait_loadcnt 0x0
	v_readfirstlane_b32 s54, v2
	s_sub_f32 s57, s56, s55
	s_bitset0_b32 s54, 31
	s_add_f32 s55, s55, s56
	s_wait_alu 0xfffe
	s_sub_f32 s56, s57, s54
	s_delay_alu instid0(SALU_CYCLE_1) | instskip(NEXT) | instid1(SALU_CYCLE_2)
	s_add_f32 s55, s55, s54
	s_cmp_lt_f32 s56, s43
	s_cselect_b32 s43, s56, s43
	s_wait_alu 0xfffe
	s_cmp_lt_f32 s5, s55
	s_cselect_b32 s5, s55, s5
	s_add_co_i32 s49, s49, -1
	s_wait_alu 0xfffe
	s_cmp_lg_u32 s49, 0
	s_cbranch_scc1 .LBB3_9
.LBB3_10:                               ;   in Loop: Header=BB3_4 Depth=1
	s_ashr_i32 s49, s48, 31
	s_wait_alu 0xfffe
	s_lshl_b64 s[2:3], s[48:49], 2
	s_wait_alu 0xfffe
	s_add_nc_u64 s[2:3], s[44:45], s[2:3]
	global_load_b32 v1, v12, s[2:3] offset:-4
	s_wait_loadcnt 0x0
	v_readfirstlane_b32 s2, v1
	s_wait_alu 0xfffe
	s_sub_f32 s3, s2, s54
	s_add_f32 s2, s54, s2
	s_wait_alu 0xfffe
	s_delay_alu instid0(SALU_CYCLE_1)
	s_cmp_lt_f32 s3, s43
	s_cselect_b32 s43, s3, s43
	s_cmp_lt_f32 s5, s2
	s_cselect_b32 s2, s2, s5
	s_and_b32 s3, s43, 0x7fffffff
	s_wait_alu 0xfffe
	s_and_b32 s5, s2, 0x7fffffff
	s_wait_alu 0xfffe
	s_cmp_lt_f32 s3, s5
	s_cvt_f32_i32 s5, s48
	s_cselect_b32 s3, s2, s43
	s_and_not1_b32 vcc_lo, exec_lo, s59
	s_wait_alu 0xfffe
	s_bitset0_b32 s3, 31
	s_wait_alu 0xfffe
	s_mul_f32 s3, s28, s3
	s_wait_alu 0xfffe
	s_delay_alu instid0(SALU_CYCLE_2) | instskip(SKIP_3) | instid1(SALU_CYCLE_1)
	s_xor_b32 s49, s3, 0x80000000
	s_fmac_f32 s2, s3, s5
	s_wait_alu 0xfffe
	s_fmac_f32 s43, s49, s5
	s_add_f32 s2, s33, s2
	s_delay_alu instid0(SALU_CYCLE_2) | instskip(SKIP_1) | instid1(SALU_CYCLE_2)
	s_sub_f32 s5, s43, s33
	s_wait_alu 0xfffe
	v_dual_mov_b32 v2, s2 :: v_dual_mov_b32 v1, s5
	s_cbranch_vccnz .LBB3_12
; %bb.11:                               ;   in Loop: Header=BB3_4 Depth=1
	global_load_b64 v[1:2], v12, s[14:15]
	s_wait_loadcnt 0x0
	v_cmp_lt_f32_e32 vcc_lo, s5, v1
	s_wait_alu 0xfffd
	v_cndmask_b32_e32 v1, s5, v1, vcc_lo
	v_cmp_gt_f32_e32 vcc_lo, s2, v2
	s_wait_alu 0xfffd
	v_cndmask_b32_e32 v2, s2, v2, vcc_lo
.LBB3_12:                               ;   in Loop: Header=BB3_4 Depth=1
	s_delay_alu instid0(VALU_DEP_1)
	v_cmp_nlt_f32_e32 vcc_lo, v1, v2
	s_mov_b32 s2, -1
	s_cbranch_vccz .LBB3_16
; %bb.13:                               ;   in Loop: Header=BB3_4 Depth=1
	s_and_saveexec_b32 s2, s0
	s_cbranch_execz .LBB3_15
; %bb.14:                               ;   in Loop: Header=BB3_4 Depth=1
	s_add_nc_u64 s[52:53], s[16:17], s[40:41]
	ds_store_b16 v12, v12 offset:4612
	global_store_b32 v12, v12, s[52:53]
.LBB3_15:                               ;   in Loop: Header=BB3_4 Depth=1
	s_wait_alu 0xfffe
	s_or_b32 exec_lo, exec_lo, s2
	s_mov_b32 s2, 0
.LBB3_16:                               ;   in Loop: Header=BB3_4 Depth=1
	v_mov_b32_e32 v4, v14
	s_mov_b32 s54, s65
	s_wait_alu 0xfffe
	s_and_not1_b32 vcc_lo, exec_lo, s2
	s_mov_b32 s5, s64
	s_mov_b32 s43, s62
	s_wait_alu 0xfffe
	s_cbranch_vccnz .LBB3_29
; %bb.17:                               ;   in Loop: Header=BB3_4 Depth=1
	v_sub_f32_e32 v3, v2, v1
	s_delay_alu instid0(VALU_DEP_1) | instskip(NEXT) | instid1(VALU_DEP_1)
	v_add_f32_e32 v3, s33, v3
	v_cmp_gt_f32_e32 vcc_lo, 0x800000, v3
	s_wait_alu 0xfffd
	v_cndmask_b32_e64 v4, 1.0, 0x4f800000, vcc_lo
	v_cndmask_b32_e64 v7, 0, 0x41b17218, vcc_lo
	s_delay_alu instid0(VALU_DEP_2) | instskip(NEXT) | instid1(VALU_DEP_1)
	v_mul_f32_e32 v3, v3, v4
	v_log_f32_e32 v3, v3
	s_delay_alu instid0(TRANS32_DEP_1) | instskip(NEXT) | instid1(VALU_DEP_1)
	v_mul_f32_e32 v4, 0x3f317217, v3
	v_xor_b32_e32 v4, 0x80000000, v4
	s_delay_alu instid0(VALU_DEP_1) | instskip(NEXT) | instid1(VALU_DEP_1)
	v_fmac_f32_e32 v4, 0x3f317217, v3
	v_fmac_f32_e32 v4, 0x3377d1cf, v3
	s_delay_alu instid0(VALU_DEP_1) | instskip(SKIP_1) | instid1(VALU_DEP_1)
	v_fmac_f32_e32 v4, 0x3f317217, v3
	v_and_b32_e32 v6, 0x7fffffff, v3
	v_cmp_gt_f32_e32 vcc_lo, 0x7f800000, v6
	s_wait_alu 0xfffd
	s_delay_alu instid0(VALU_DEP_3) | instskip(NEXT) | instid1(VALU_DEP_1)
	v_cndmask_b32_e32 v3, v3, v4, vcc_lo
	v_sub_f32_e32 v3, v3, v7
	s_delay_alu instid0(VALU_DEP_1) | instskip(NEXT) | instid1(VALU_DEP_1)
	v_subrev_f32_e32 v3, s61, v3
	v_cvt_f64_f32_e32 v[3:4], v3
	s_delay_alu instid0(VALU_DEP_1) | instskip(SKIP_1) | instid1(VALU_DEP_2)
	v_div_scale_f64 v[6:7], null, s[38:39], s[38:39], v[3:4]
	v_div_scale_f64 v[19:20], vcc_lo, v[3:4], s[38:39], v[3:4]
	v_rcp_f64_e32 v[15:16], v[6:7]
	s_delay_alu instid0(TRANS32_DEP_1) | instskip(NEXT) | instid1(VALU_DEP_1)
	v_fma_f64 v[17:18], -v[6:7], v[15:16], 1.0
	v_fma_f64 v[15:16], v[15:16], v[17:18], v[15:16]
	s_delay_alu instid0(VALU_DEP_1) | instskip(NEXT) | instid1(VALU_DEP_1)
	v_fma_f64 v[17:18], -v[6:7], v[15:16], 1.0
	v_fma_f64 v[15:16], v[15:16], v[17:18], v[15:16]
	s_delay_alu instid0(VALU_DEP_1) | instskip(NEXT) | instid1(VALU_DEP_1)
	v_mul_f64_e32 v[17:18], v[19:20], v[15:16]
	v_fma_f64 v[6:7], -v[6:7], v[17:18], v[19:20]
	s_wait_alu 0xfffd
	s_delay_alu instid0(VALU_DEP_1) | instskip(NEXT) | instid1(VALU_DEP_1)
	v_div_fmas_f64 v[6:7], v[6:7], v[15:16], v[17:18]
	v_div_fixup_f64 v[3:4], v[6:7], s[38:39], v[3:4]
	s_delay_alu instid0(VALU_DEP_1) | instskip(SKIP_1) | instid1(VALU_DEP_2)
	v_cvt_i32_f64_e32 v3, v[3:4]
	v_mov_b32_e32 v4, v14
	v_readfirstlane_b32 s5, v3
	s_and_saveexec_b32 s43, s0
	s_cbranch_execz .LBB3_28
; %bb.18:                               ;   in Loop: Header=BB3_4 Depth=1
	v_sub_f32_e32 v4, v5, v1
	s_cmp_gt_i32 s48, 1
	s_add_nc_u64 s[52:53], s[18:19], s[50:51]
	s_cselect_b32 s49, -1, 0
	s_cmp_lt_i32 s48, 2
	v_cmp_ge_f32_e32 vcc_lo, s33, v4
	ds_store_b8 v12, v12 offset:4613
	s_wait_alu 0xfffd
	v_cndmask_b32_e64 v3, 0, 1, vcc_lo
	s_cbranch_scc1 .LBB3_21
; %bb.19:                               ;   in Loop: Header=BB3_4 Depth=1
	s_xor_b32 s67, s33, 0x80000000
	s_not_b32 s54, s42
	s_wait_alu 0xfffe
	v_cmp_lt_f32_e64 s2, s67, v4
	s_add_co_i32 s68, s54, s66
	s_add_nc_u64 s[54:55], s[20:21], s[50:51]
	s_mov_b64 s[56:57], s[52:53]
	s_and_b32 s2, vcc_lo, s2
	s_wait_alu 0xfffe
	v_cndmask_b32_e64 v4, v4, s67, s2
.LBB3_20:                               ;   Parent Loop BB3_4 Depth=1
                                        ; =>  This Inner Loop Header: Depth=2
	s_clause 0x1
	global_load_b32 v6, v12, s[56:57]
	global_load_b32 v7, v12, s[54:55]
	s_add_co_i32 s68, s68, -1
	s_add_nc_u64 s[54:55], s[54:55], 4
	s_add_nc_u64 s[56:57], s[56:57], 4
	s_wait_loadcnt 0x1
	v_div_scale_f32 v8, null, v4, v4, v6
	v_div_scale_f32 v17, vcc_lo, v6, v4, v6
	s_wait_loadcnt 0x0
	v_sub_f32_e32 v7, v7, v1
	s_delay_alu instid0(VALU_DEP_3)
	v_rcp_f32_e32 v15, v8
	v_xor_b32_e32 v8, 0x80000000, v8
	s_delay_alu instid0(TRANS32_DEP_1) | instid1(VALU_DEP_1)
	v_fma_f32 v16, v8, v15, 1.0
	s_delay_alu instid0(VALU_DEP_1) | instskip(NEXT) | instid1(VALU_DEP_1)
	v_fmac_f32_e32 v15, v16, v15
	v_mul_f32_e32 v16, v17, v15
	s_delay_alu instid0(VALU_DEP_1) | instskip(NEXT) | instid1(VALU_DEP_1)
	v_fma_f32 v18, v8, v16, v17
	v_fmac_f32_e32 v16, v18, v15
	s_delay_alu instid0(VALU_DEP_1) | instskip(SKIP_1) | instid1(VALU_DEP_1)
	v_fmac_f32_e32 v17, v8, v16
	s_wait_alu 0xfffd
	v_div_fmas_f32 v8, v17, v15, v16
	s_delay_alu instid0(VALU_DEP_1) | instskip(NEXT) | instid1(VALU_DEP_1)
	v_div_fixup_f32 v4, v8, v4, v6
	v_sub_f32_e32 v4, v7, v4
	s_delay_alu instid0(VALU_DEP_1)
	v_cmp_ge_f32_e32 vcc_lo, s33, v4
	v_cmp_lt_f32_e64 s2, s67, v4
	s_wait_alu 0xfffd
	v_add_co_ci_u32_e64 v3, null, 0, v3, vcc_lo
	s_and_b32 s2, vcc_lo, s2
	s_wait_alu 0xfffe
	s_cmp_lg_u32 s68, 0
	v_cndmask_b32_e64 v4, v4, s67, s2
	s_cbranch_scc1 .LBB3_20
.LBB3_21:                               ;   in Loop: Header=BB3_4 Depth=1
	v_sub_f32_e32 v5, v5, v2
	s_wait_alu 0xfffe
	s_and_not1_b32 vcc_lo, exec_lo, s49
	s_delay_alu instid0(VALU_DEP_1) | instskip(SKIP_1) | instid1(VALU_DEP_1)
	v_cmp_ge_f32_e64 s2, s33, v5
	s_wait_alu 0xf1ff
	v_cndmask_b32_e64 v4, 0, 1, s2
	s_wait_alu 0xfffe
	s_cbranch_vccnz .LBB3_24
; %bb.22:                               ;   in Loop: Header=BB3_4 Depth=1
	s_xor_b32 s49, s33, 0x80000000
	s_add_nc_u64 s[54:55], s[20:21], s[50:51]
	s_wait_alu 0xfffe
	v_cmp_lt_f32_e32 vcc_lo, s49, v5
	s_and_b32 s2, s2, vcc_lo
	s_wait_alu 0xfffe
	v_cndmask_b32_e64 v5, v5, s49, s2
	s_not_b32 s2, s42
	s_wait_alu 0xfffe
	s_add_co_i32 s56, s2, s66
.LBB3_23:                               ;   Parent Loop BB3_4 Depth=1
                                        ; =>  This Inner Loop Header: Depth=2
	s_clause 0x1
	global_load_b32 v6, v12, s[52:53]
	global_load_b32 v7, v12, s[54:55]
	s_add_co_i32 s56, s56, -1
	s_add_nc_u64 s[54:55], s[54:55], 4
	s_add_nc_u64 s[52:53], s[52:53], 4
	s_wait_loadcnt 0x1
	v_div_scale_f32 v8, null, v5, v5, v6
	v_div_scale_f32 v17, vcc_lo, v6, v5, v6
	s_wait_loadcnt 0x0
	v_sub_f32_e32 v7, v7, v2
	s_delay_alu instid0(VALU_DEP_3)
	v_rcp_f32_e32 v15, v8
	v_xor_b32_e32 v8, 0x80000000, v8
	s_delay_alu instid0(TRANS32_DEP_1) | instid1(VALU_DEP_1)
	v_fma_f32 v16, v8, v15, 1.0
	s_delay_alu instid0(VALU_DEP_1) | instskip(NEXT) | instid1(VALU_DEP_1)
	v_fmac_f32_e32 v15, v16, v15
	v_mul_f32_e32 v16, v17, v15
	s_delay_alu instid0(VALU_DEP_1) | instskip(NEXT) | instid1(VALU_DEP_1)
	v_fma_f32 v18, v8, v16, v17
	v_fmac_f32_e32 v16, v18, v15
	s_delay_alu instid0(VALU_DEP_1) | instskip(SKIP_1) | instid1(VALU_DEP_1)
	v_fmac_f32_e32 v17, v8, v16
	s_wait_alu 0xfffd
	v_div_fmas_f32 v8, v17, v15, v16
	s_delay_alu instid0(VALU_DEP_1) | instskip(NEXT) | instid1(VALU_DEP_1)
	v_div_fixup_f32 v5, v8, v5, v6
	v_sub_f32_e32 v5, v7, v5
	s_delay_alu instid0(VALU_DEP_1)
	v_cmp_ge_f32_e32 vcc_lo, s33, v5
	v_cmp_lt_f32_e64 s2, s49, v5
	s_wait_alu 0xfffd
	v_add_co_ci_u32_e64 v4, null, 0, v4, vcc_lo
	s_and_b32 s2, vcc_lo, s2
	s_cmp_lg_u32 s56, 0
	s_wait_alu 0xfffe
	v_cndmask_b32_e64 v5, v5, s49, s2
	s_cbranch_scc1 .LBB3_23
.LBB3_24:                               ;   in Loop: Header=BB3_4 Depth=1
	s_delay_alu instid0(VALU_DEP_1) | instskip(SKIP_1) | instid1(VALU_DEP_1)
	v_sub_nc_u32_e32 v5, v4, v3
	s_mov_b32 s2, -1
	v_cmp_gt_i32_e32 vcc_lo, 1, v5
	s_cbranch_vccz .LBB3_26
; %bb.25:                               ;   in Loop: Header=BB3_4 Depth=1
	s_add_nc_u64 s[52:53], s[16:17], s[40:41]
	s_mov_b32 s2, 0
	ds_store_b8 v12, v12 offset:4612
	global_store_b32 v12, v12, s[52:53]
.LBB3_26:                               ;   in Loop: Header=BB3_4 Depth=1
	s_wait_alu 0xfffe
	s_and_not1_b32 vcc_lo, exec_lo, s2
	s_wait_alu 0xfffe
	s_cbranch_vccnz .LBB3_28
; %bb.27:                               ;   in Loop: Header=BB3_4 Depth=1
	s_add_co_i32 s2, s42, s29
	s_add_nc_u64 s[54:55], s[16:17], s[40:41]
	s_wait_alu 0xfffe
	s_lshl_b32 s52, s2, 1
	ds_store_b8 v12, v13 offset:4612
	s_ashr_i32 s53, s52, 31
	s_delay_alu instid0(SALU_CYCLE_1) | instskip(NEXT) | instid1(SALU_CYCLE_1)
	s_lshl_b64 s[52:53], s[52:53], 2
	s_add_nc_u64 s[56:57], s[22:23], s[52:53]
	s_add_nc_u64 s[52:53], s[26:27], s[52:53]
	s_clause 0x2
	global_store_b64 v12, v[1:2], s[56:57]
	global_store_b32 v12, v5, s[54:55]
	global_store_b64 v12, v[3:4], s[52:53]
.LBB3_28:                               ;   in Loop: Header=BB3_4 Depth=1
	s_or_b32 exec_lo, exec_lo, s43
	s_add_co_i32 s5, s5, 2
	s_mov_b32 s43, 0
	s_mov_b32 s54, 1
.LBB3_29:                               ;   in Loop: Header=BB3_4 Depth=1
	s_wait_storecnt_dscnt 0x0
	s_barrier_signal -1
	s_barrier_wait -1
	global_inv scope:SCOPE_SE
	ds_load_u16 v1, v12 offset:4612
	s_wait_dscnt 0x0
	v_readfirstlane_b32 s49, v1
	s_bitcmp1_b32 s49, 0
	s_cselect_b32 s2, -1, 0
	s_bitcmp1_b32 s49, 8
	s_cselect_b32 s52, -1, 0
	s_delay_alu instid0(SALU_CYCLE_1)
	s_xor_b32 s49, s52, -1
	s_wait_alu 0xfffe
	s_and_b32 s49, s2, s49
	s_cmp_lt_i32 s43, s5
	s_cselect_b32 s53, -1, 0
	s_wait_alu 0xfffe
	s_and_b32 s49, s49, s53
	s_wait_alu 0xfffe
	s_and_not1_b32 vcc_lo, exec_lo, s49
	s_wait_alu 0xfffe
	s_cbranch_vccnz .LBB3_64
; %bb.30:                               ;   in Loop: Header=BB3_4 Depth=1
	s_and_b32 s2, s58, exec_lo
	s_cselect_b32 s2, s3, s30
	s_wait_alu 0xfffe
	s_cmp_lt_f32 s2, s33
	s_cselect_b32 s56, s33, s2
	s_add_co_i32 s2, s42, s29
	s_lshl_b32 s57, s42, 1
	s_wait_alu 0xfffe
	s_lshl_b32 s67, s2, 1
	s_cmp_gt_i32 s48, 1
	s_add_nc_u64 s[48:49], s[18:19], s[50:51]
	s_cselect_b32 s68, -1, 0
	s_not_b32 s2, s42
	s_wait_alu 0xfffe
	s_add_co_i32 s66, s2, s66
	s_branch .LBB3_32
.LBB3_31:                               ;   in Loop: Header=BB3_32 Depth=2
	s_wait_alu 0xfffe
	s_or_b32 exec_lo, exec_lo, s2
	s_wait_loadcnt_dscnt 0x0
	s_barrier_signal -1
	s_barrier_wait -1
	global_inv scope:SCOPE_SE
	ds_load_u16 v1, v12 offset:4612
	s_add_co_i32 s43, s43, 1
	s_wait_dscnt 0x0
	v_readfirstlane_b32 s3, v1
	s_bitcmp1_b32 s3, 0
	s_cselect_b32 s2, -1, 0
	s_bitcmp1_b32 s3, 8
	s_cselect_b32 s52, -1, 0
	s_delay_alu instid0(SALU_CYCLE_1)
	s_xor_b32 s3, s52, -1
	s_wait_alu 0xfffe
	s_and_b32 s3, s2, s3
	s_cmp_lt_i32 s43, s5
	s_cselect_b32 s50, -1, 0
	s_wait_alu 0xfffe
	s_and_b32 s3, s3, s50
	s_wait_alu 0xfffe
	s_and_b32 vcc_lo, exec_lo, s3
	s_wait_alu 0xfffe
	s_cbranch_vccz .LBB3_65
.LBB3_32:                               ;   Parent Loop BB3_4 Depth=1
                                        ; =>  This Loop Header: Depth=2
                                        ;       Child Loop BB3_37 Depth 3
                                        ;         Child Loop BB3_40 Depth 4
                                        ;         Child Loop BB3_53 Depth 4
	s_and_saveexec_b32 s2, s0
; %bb.33:                               ;   in Loop: Header=BB3_32 Depth=2
	ds_store_b32 v12, v12 offset:4608
; %bb.34:                               ;   in Loop: Header=BB3_32 Depth=2
	s_wait_alu 0xfffe
	s_or_b32 exec_lo, exec_lo, s2
	s_bitcmp0_b32 s43, 0
	s_cselect_b32 s2, -1, 0
	s_wait_alu 0xfffe
	s_and_b32 s3, s2, exec_lo
	s_cselect_b32 s55, s57, s67
	s_cmp_lt_i32 s54, 1
	s_cbranch_scc1 .LBB3_60
; %bb.35:                               ;   in Loop: Header=BB3_32 Depth=2
	s_and_b32 s2, s2, exec_lo
	s_cselect_b32 s69, s67, s57
	s_mov_b32 s70, 0
	s_branch .LBB3_37
.LBB3_36:                               ;   in Loop: Header=BB3_37 Depth=3
	s_wait_alu 0xfffe
	s_or_b32 exec_lo, exec_lo, s3
	s_addk_co_i32 s70, 0x80
	s_wait_loadcnt_dscnt 0x0
	s_wait_alu 0xfffe
	s_cmp_ge_i32 s70, s54
	s_barrier_signal -1
	s_barrier_wait -1
	global_inv scope:SCOPE_SE
	s_cbranch_scc1 .LBB3_60
.LBB3_37:                               ;   Parent Loop BB3_4 Depth=1
                                        ;     Parent Loop BB3_32 Depth=2
                                        ; =>    This Loop Header: Depth=3
                                        ;         Child Loop BB3_40 Depth 4
                                        ;         Child Loop BB3_53 Depth 4
	s_wait_alu 0xfffe
	v_add_nc_u32_e32 v1, s70, v0
	s_delay_alu instid0(VALU_DEP_1)
	v_cmp_gt_i32_e64 s2, s54, v1
	s_and_saveexec_b32 s71, s2
	s_cbranch_execz .LBB3_50
; %bb.38:                               ;   in Loop: Header=BB3_37 Depth=3
	v_lshl_add_u32 v1, v1, 1, s69
	s_delay_alu instid0(VALU_DEP_1) | instskip(NEXT) | instid1(VALU_DEP_1)
	v_ashrrev_i32_e32 v2, 31, v1
	v_lshlrev_b64_e32 v[3:4], 2, v[1:2]
	s_delay_alu instid0(VALU_DEP_1) | instskip(SKIP_1) | instid1(VALU_DEP_2)
	v_add_co_u32 v1, vcc_lo, s22, v3
	s_wait_alu 0xfffd
	v_add_co_ci_u32_e64 v2, null, s23, v4, vcc_lo
	v_add_co_u32 v3, vcc_lo, s26, v3
	s_wait_alu 0xfffd
	v_add_co_ci_u32_e64 v4, null, s27, v4, vcc_lo
	global_load_b64 v[7:8], v[1:2], off
	global_load_b32 v2, v12, s[44:45]
	s_and_not1_b32 vcc_lo, exec_lo, s68
	global_load_b64 v[3:4], v[3:4], off
	s_wait_loadcnt 0x2
	v_add_f32_e32 v1, v7, v8
	s_wait_loadcnt 0x1
	s_delay_alu instid0(VALU_DEP_1) | instskip(SKIP_1) | instid1(VALU_DEP_2)
	v_fmac_f32_e32 v2, -0.5, v1
	v_mul_f32_e32 v6, 0.5, v1
	v_cmp_ge_f32_e64 s3, s33, v2
	s_wait_alu 0xf1ff
	s_delay_alu instid0(VALU_DEP_1)
	v_cndmask_b32_e64 v1, 0, 1, s3
	s_wait_alu 0xfffe
	s_cbranch_vccnz .LBB3_41
; %bb.39:                               ;   in Loop: Header=BB3_37 Depth=3
	v_cmp_gt_f32_e64 s50, v2, -s33
	s_mov_b64 s[52:53], s[46:47]
	s_and_b32 s3, s3, s50
	s_mov_b64 s[50:51], s[48:49]
	s_wait_alu 0xfffe
	v_cndmask_b32_e64 v2, v2, -s33, s3
	s_mov_b32 s3, s66
.LBB3_40:                               ;   Parent Loop BB3_4 Depth=1
                                        ;     Parent Loop BB3_32 Depth=2
                                        ;       Parent Loop BB3_37 Depth=3
                                        ; =>      This Inner Loop Header: Depth=4
	s_clause 0x1
	global_load_b32 v5, v12, s[50:51]
	global_load_b32 v15, v12, s[52:53]
	s_wait_alu 0xfffe
	s_add_co_i32 s3, s3, -1
	s_add_nc_u64 s[52:53], s[52:53], 4
	s_add_nc_u64 s[50:51], s[50:51], 4
	s_wait_loadcnt 0x1
	v_div_scale_f32 v16, null, v2, v2, v5
	v_div_scale_f32 v19, vcc_lo, v5, v2, v5
	s_wait_loadcnt 0x0
	v_sub_f32_e32 v15, v15, v6
	s_delay_alu instid0(VALU_DEP_3) | instskip(NEXT) | instid1(TRANS32_DEP_1)
	v_rcp_f32_e32 v17, v16
	v_fma_f32 v18, -v16, v17, 1.0
	s_delay_alu instid0(VALU_DEP_1) | instskip(NEXT) | instid1(VALU_DEP_1)
	v_fmac_f32_e32 v17, v18, v17
	v_mul_f32_e32 v18, v19, v17
	s_delay_alu instid0(VALU_DEP_1) | instskip(NEXT) | instid1(VALU_DEP_1)
	v_fma_f32 v20, -v16, v18, v19
	v_fmac_f32_e32 v18, v20, v17
	s_delay_alu instid0(VALU_DEP_1) | instskip(SKIP_1) | instid1(VALU_DEP_1)
	v_fma_f32 v16, -v16, v18, v19
	s_wait_alu 0xfffd
	v_div_fmas_f32 v16, v16, v17, v18
	s_delay_alu instid0(VALU_DEP_1) | instskip(NEXT) | instid1(VALU_DEP_1)
	v_div_fixup_f32 v2, v16, v2, v5
	v_sub_f32_e32 v2, v15, v2
	s_delay_alu instid0(VALU_DEP_1)
	v_cmp_ge_f32_e32 vcc_lo, s33, v2
	v_cmp_gt_f32_e64 s72, v2, -s33
	s_wait_alu 0xfffd
	v_add_co_ci_u32_e64 v1, null, 0, v1, vcc_lo
	s_and_b32 s72, vcc_lo, s72
	s_wait_alu 0xfffe
	s_cmp_lg_u32 s3, 0
	v_cndmask_b32_e64 v2, v2, -s33, s72
	s_cbranch_scc1 .LBB3_40
.LBB3_41:                               ;   in Loop: Header=BB3_37 Depth=3
	s_wait_loadcnt 0x0
	s_delay_alu instid0(VALU_DEP_1) | instskip(SKIP_1) | instid1(VALU_DEP_1)
	v_max_i32_e32 v1, v1, v3
	s_mov_b32 s3, exec_lo
	v_min_i32_e32 v2, v1, v4
	s_delay_alu instid0(VALU_DEP_1)
	v_cmpx_ne_u32_e64 v2, v3
	s_wait_alu 0xfffe
	s_xor_b32 s3, exec_lo, s3
	s_cbranch_execz .LBB3_47
; %bb.42:                               ;   in Loop: Header=BB3_37 Depth=3
	s_mov_b32 s50, exec_lo
	v_cmpx_le_i32_e64 v4, v1
	s_wait_alu 0xfffe
	s_xor_b32 s50, exec_lo, s50
	s_cbranch_execz .LBB3_44
; %bb.43:                               ;   in Loop: Header=BB3_37 Depth=3
	v_dual_mov_b32 v8, v6 :: v_dual_mov_b32 v1, v3
	ds_store_b32 v10, v12
	ds_store_b64 v9, v[7:8]
	ds_store_b64 v11, v[1:2]
                                        ; implicit-def: $vgpr7_vgpr8
.LBB3_44:                               ;   in Loop: Header=BB3_37 Depth=3
	s_wait_alu 0xfffe
	s_and_not1_saveexec_b32 s50, s50
	s_cbranch_execz .LBB3_46
; %bb.45:                               ;   in Loop: Header=BB3_37 Depth=3
	v_mov_b32_e32 v5, v7
	v_mov_b32_e32 v7, v6
	;; [unrolled: 1-line block ×4, first 2 shown]
	ds_store_b32 v10, v13
	ds_store_b128 v9, v[5:8]
	ds_store_b128 v11, v[1:4]
.LBB3_46:                               ;   in Loop: Header=BB3_37 Depth=3
	s_wait_alu 0xfffe
	s_or_b32 exec_lo, exec_lo, s50
                                        ; implicit-def: $vgpr6
.LBB3_47:                               ;   in Loop: Header=BB3_37 Depth=3
	s_wait_alu 0xfffe
	s_and_not1_saveexec_b32 s3, s3
	s_cbranch_execz .LBB3_49
; %bb.48:                               ;   in Loop: Header=BB3_37 Depth=3
	v_mov_b32_e32 v7, v8
	ds_store_b32 v10, v12
	ds_store_b64 v9, v[6:7]
	ds_store_b64 v11, v[3:4]
.LBB3_49:                               ;   in Loop: Header=BB3_37 Depth=3
	s_wait_alu 0xfffe
	s_or_b32 exec_lo, exec_lo, s3
.LBB3_50:                               ;   in Loop: Header=BB3_37 Depth=3
	s_wait_alu 0xfffe
	s_or_b32 exec_lo, exec_lo, s71
	s_wait_loadcnt_dscnt 0x0
	s_barrier_signal -1
	s_barrier_wait -1
	global_inv scope:SCOPE_SE
	s_and_saveexec_b32 s3, s2
	s_cbranch_execz .LBB3_58
; %bb.51:                               ;   in Loop: Header=BB3_37 Depth=3
	v_mov_b32_e32 v4, 0
	s_and_saveexec_b32 s2, s1
	s_cbranch_execz .LBB3_55
; %bb.52:                               ;   in Loop: Header=BB3_37 Depth=3
	v_dual_mov_b32 v4, 0 :: v_dual_mov_b32 v1, v0
	s_movk_i32 s51, 0x1000
	s_mov_b32 s50, 0
.LBB3_53:                               ;   Parent Loop BB3_4 Depth=1
                                        ;     Parent Loop BB3_32 Depth=2
                                        ;       Parent Loop BB3_37 Depth=3
                                        ; =>      This Inner Loop Header: Depth=4
	s_wait_alu 0xfffe
	s_delay_alu instid0(VALU_DEP_1)
	v_dual_mov_b32 v2, s51 :: v_dual_add_nc_u32 v1, -1, v1
	s_add_co_i32 s51, s51, 4
	ds_load_b32 v2, v2
	v_cmp_eq_u32_e32 vcc_lo, 0, v1
	s_or_b32 s50, vcc_lo, s50
	s_wait_dscnt 0x0
	v_add_nc_u32_e32 v4, v2, v4
	s_wait_alu 0xfffe
	s_and_not1_b32 exec_lo, exec_lo, s50
	s_cbranch_execnz .LBB3_53
; %bb.54:                               ;   in Loop: Header=BB3_37 Depth=3
	s_or_b32 exec_lo, exec_lo, s50
.LBB3_55:                               ;   in Loop: Header=BB3_37 Depth=3
	s_wait_alu 0xfffe
	s_or_b32 exec_lo, exec_lo, s2
	ds_load_b32 v1, v12 offset:4608
	ds_load_b64 v[7:8], v11
	ds_load_b32 v3, v10
	ds_load_b64 v[15:16], v9
	s_mov_b32 s2, exec_lo
	s_wait_dscnt 0x3
	v_add3_u32 v1, v4, v0, v1
	s_delay_alu instid0(VALU_DEP_1) | instskip(NEXT) | instid1(VALU_DEP_1)
	v_lshl_add_u32 v1, v1, 1, s55
	v_ashrrev_i32_e32 v2, 31, v1
	s_delay_alu instid0(VALU_DEP_1) | instskip(NEXT) | instid1(VALU_DEP_1)
	v_lshlrev_b64_e32 v[5:6], 2, v[1:2]
	v_add_co_u32 v1, vcc_lo, s22, v5
	s_wait_alu 0xfffd
	s_delay_alu instid0(VALU_DEP_2)
	v_add_co_ci_u32_e64 v2, null, s23, v6, vcc_lo
	v_add_co_u32 v5, vcc_lo, s26, v5
	s_wait_alu 0xfffd
	v_add_co_ci_u32_e64 v6, null, s27, v6, vcc_lo
	s_wait_dscnt 0x0
	global_store_b64 v[1:2], v[15:16], off
	global_store_b64 v[5:6], v[7:8], off
	v_cmpx_ne_u32_e32 0, v3
	s_cbranch_execz .LBB3_57
; %bb.56:                               ;   in Loop: Header=BB3_37 Depth=3
	ds_load_b64 v[7:8], v9 offset:8
	ds_load_b64 v[15:16], v11 offset:8
	s_wait_dscnt 0x1
	global_store_b64 v[1:2], v[7:8], off offset:8
	s_wait_dscnt 0x0
	global_store_b64 v[5:6], v[15:16], off offset:8
.LBB3_57:                               ;   in Loop: Header=BB3_37 Depth=3
	s_wait_alu 0xfffe
	s_or_b32 exec_lo, exec_lo, s2
.LBB3_58:                               ;   in Loop: Header=BB3_37 Depth=3
	s_wait_alu 0xfffe
	s_or_b32 exec_lo, exec_lo, s3
	s_sub_co_i32 s2, s54, s70
	s_wait_loadcnt 0x0
	s_wait_storecnt 0x0
	s_wait_alu 0xfffe
	s_min_i32 s2, s2, 0x80
	s_barrier_signal -1
	s_wait_alu 0xfffe
	s_add_co_i32 s3, s2, -1
	s_barrier_wait -1
	s_wait_alu 0xfffe
	v_cmp_eq_u32_e32 vcc_lo, s3, v0
	global_inv scope:SCOPE_SE
	s_and_saveexec_b32 s3, vcc_lo
	s_cbranch_execz .LBB3_36
; %bb.59:                               ;   in Loop: Header=BB3_37 Depth=3
	ds_load_b32 v1, v10
	ds_load_b32 v2, v12 offset:4608
	v_add_nc_u32_e32 v3, s2, v4
	s_wait_dscnt 0x0
	s_delay_alu instid0(VALU_DEP_1)
	v_add3_u32 v1, v3, v1, v2
	ds_store_b32 v12, v1 offset:4608
	s_branch .LBB3_36
.LBB3_60:                               ;   in Loop: Header=BB3_32 Depth=2
	ds_load_b32 v1, v12 offset:4608
	s_wait_dscnt 0x0
	v_readfirstlane_b32 s54, v1
	s_and_saveexec_b32 s2, s0
	s_cbranch_execz .LBB3_31
; %bb.61:                               ;   in Loop: Header=BB3_32 Depth=2
	ds_load_b64 v[1:2], v12
	s_wait_dscnt 0x0
	v_readfirstlane_b32 s3, v1
	v_readfirstlane_b32 s50, v2
	s_wait_alu 0xfffe
	s_and_b32 s51, s3, 0x7fffffff
	s_and_b32 s52, s50, 0x7fffffff
	s_wait_alu 0xfffe
	s_cmp_lt_f32 s51, s52
	s_cselect_b32 s51, s50, s3
	s_sub_f32 s3, s50, s3
	s_wait_alu 0xfffe
	s_bitset0_b32 s51, 31
	s_wait_alu 0xfffe
	s_mul_f32 s51, s60, s51
	s_wait_alu 0xfffe
	s_delay_alu instid0(SALU_CYCLE_2)
	s_cmp_lt_f32 s56, s51
	s_cselect_b32 s50, s51, s56
	s_wait_alu 0xfffe
	s_cmp_nlt_f32 s3, s50
	s_cbranch_scc1 .LBB3_31
; %bb.62:                               ;   in Loop: Header=BB3_32 Depth=2
	ds_store_b8 v12, v13 offset:4613
	s_branch .LBB3_31
.LBB3_63:                               ;   in Loop: Header=BB3_4 Depth=1
                                        ; implicit-def: $sgpr43
                                        ; implicit-def: $sgpr55
                                        ; implicit-def: $sgpr5
                                        ; implicit-def: $sgpr54
                                        ; implicit-def: $vgpr4
	s_cbranch_execz .LBB3_3
	s_branch .LBB3_77
.LBB3_64:                               ;   in Loop: Header=BB3_4 Depth=1
	s_mov_b32 s55, s63
.LBB3_65:                               ;   in Loop: Header=BB3_4 Depth=1
	s_and_b32 s2, s0, s2
	s_wait_alu 0xfffe
	s_and_saveexec_b32 s46, s2
	s_cbranch_execz .LBB3_76
; %bb.66:                               ;   in Loop: Header=BB3_4 Depth=1
	s_cmp_lt_i32 s54, 1
	s_cbranch_scc1 .LBB3_74
; %bb.67:                               ;   in Loop: Header=BB3_4 Depth=1
	s_add_co_i32 s2, s4, 1
	s_not_b32 s3, s4
	s_and_b32 s44, s52, exec_lo
	s_wait_alu 0xfffe
	s_cselect_b32 s47, s2, s3
	s_mov_b32 s48, 0
	s_mov_b32 s49, 0
	s_branch .LBB3_69
.LBB3_68:                               ;   in Loop: Header=BB3_69 Depth=2
	s_add_co_i32 s48, s48, 1
	s_wait_alu 0xfffe
	s_cmp_eq_u32 s48, s54
	s_cbranch_scc1 .LBB3_73
.LBB3_69:                               ;   Parent Loop BB3_4 Depth=1
                                        ; =>  This Loop Header: Depth=2
                                        ;       Child Loop BB3_71 Depth 3
	s_wait_alu 0xfffe
	s_lshl_b32 s2, s48, 1
	s_wait_alu 0xfffe
	s_add_co_i32 s2, s2, s55
	s_wait_alu 0xfffe
	s_ashr_i32 s3, s2, 31
	s_wait_alu 0xfffe
	s_lshl_b64 s[2:3], s[2:3], 2
	s_wait_alu 0xfffe
	s_add_nc_u64 s[44:45], s[26:27], s[2:3]
	global_load_b64 v[1:2], v12, s[44:45]
	s_wait_loadcnt 0x0
	v_readfirstlane_b32 s44, v1
	v_readfirstlane_b32 s50, v2
	s_wait_alu 0xfffe
	s_sub_co_i32 s51, s50, s44
	s_wait_alu 0xfffe
	s_cmp_lt_i32 s51, 1
	s_cbranch_scc1 .LBB3_68
; %bb.70:                               ;   in Loop: Header=BB3_69 Depth=2
	s_add_nc_u64 s[2:3], s[22:23], s[2:3]
	s_mov_b32 s53, 0
	global_load_b64 v[1:2], v12, s[2:3]
	s_add_co_i32 s2, s42, s49
	s_wait_alu 0xfffe
	s_ashr_i32 s3, s2, 31
	s_wait_alu 0xfffe
	s_lshl_b64 s[44:45], s[2:3], 2
	s_wait_alu 0xfffe
	s_add_nc_u64 s[2:3], s[6:7], s[44:45]
	s_add_nc_u64 s[44:45], s[10:11], s[44:45]
	s_wait_loadcnt 0x0
	v_add_f32_e32 v1, v1, v2
	s_delay_alu instid0(VALU_DEP_1)
	v_mul_f32_e32 v1, 0.5, v1
.LBB3_71:                               ;   Parent Loop BB3_4 Depth=1
                                        ;     Parent Loop BB3_69 Depth=2
                                        ; =>    This Inner Loop Header: Depth=3
	v_mov_b32_e32 v2, s47
	s_add_co_i32 s53, s53, 1
	global_store_b32 v12, v1, s[2:3]
	s_wait_alu 0xfffe
	s_add_nc_u64 s[2:3], s[2:3], 4
	s_cmp_ge_i32 s53, s51
	global_store_b32 v12, v2, s[44:45]
	s_add_nc_u64 s[44:45], s[44:45], 4
	s_cbranch_scc0 .LBB3_71
; %bb.72:                               ;   in Loop: Header=BB3_69 Depth=2
	s_add_co_i32 s49, s49, s53
	s_branch .LBB3_68
.LBB3_73:                               ;   in Loop: Header=BB3_4 Depth=1
	v_mov_b32_e32 v4, s50
.LBB3_74:                               ;   in Loop: Header=BB3_4 Depth=1
	s_xor_b32 s2, s52, -1
	s_wait_alu 0xfffe
	s_and_b32 vcc_lo, exec_lo, s2
	s_wait_alu 0xfffe
	s_cbranch_vccz .LBB3_76
; %bb.75:                               ;   in Loop: Header=BB3_4 Depth=1
	global_store_b32 v12, v13, s[8:9]
.LBB3_76:                               ;   in Loop: Header=BB3_4 Depth=1
	s_wait_alu 0xfffe
	s_or_b32 exec_lo, exec_lo, s46
	s_branch .LBB3_3
.LBB3_77:                               ;   in Loop: Header=BB3_4 Depth=1
	s_and_saveexec_b32 s5, s0
	s_cbranch_execz .LBB3_2
; %bb.78:                               ;   in Loop: Header=BB3_4 Depth=1
	s_ashr_i32 s43, s42, 31
	s_and_not1_b32 vcc_lo, exec_lo, s59
	s_lshl_b64 s[2:3], s[42:43], 2
	s_wait_alu 0xfffe
	s_add_nc_u64 s[42:43], s[34:35], s[2:3]
	global_load_b32 v1, v12, s[42:43]
	s_mov_b32 s42, -1
	s_cbranch_vccnz .LBB3_83
; %bb.79:                               ;   in Loop: Header=BB3_4 Depth=1
	global_load_b32 v3, v12, s[14:15]
	s_wait_loadcnt 0x1
	v_subrev_f32_e32 v2, s33, v1
	s_wait_loadcnt 0x0
	s_delay_alu instid0(VALU_DEP_1)
	v_cmp_lt_f32_e32 vcc_lo, v3, v2
	v_cmp_nlt_f32_e64 s43, v3, v2
	s_cbranch_vccz .LBB3_81
; %bb.80:                               ;   in Loop: Header=BB3_4 Depth=1
	global_load_b32 v3, v12, s[14:15] offset:4
	s_wait_loadcnt 0x0
	v_cmp_nge_f32_e64 s43, v3, v2
	s_and_not1_b32 vcc_lo, exec_lo, s43
	s_wait_alu 0xfffe
	s_cbranch_vccz .LBB3_82
	s_branch .LBB3_83
.LBB3_81:                               ;   in Loop: Header=BB3_4 Depth=1
	s_mov_b32 s42, 0
	s_and_not1_b32 vcc_lo, exec_lo, s43
	s_wait_alu 0xfffe
	s_cbranch_vccnz .LBB3_83
.LBB3_82:                               ;   in Loop: Header=BB3_4 Depth=1
	s_add_nc_u64 s[44:45], s[16:17], s[40:41]
	s_mov_b32 s42, 0
	global_store_b32 v12, v12, s[44:45]
.LBB3_83:                               ;   in Loop: Header=BB3_4 Depth=1
	s_and_b32 vcc_lo, exec_lo, s42
	s_wait_alu 0xfffe
	s_cbranch_vccz .LBB3_2
; %bb.84:                               ;   in Loop: Header=BB3_4 Depth=1
	s_add_co_i32 s44, s4, 1
	s_add_nc_u64 s[42:43], s[6:7], s[2:3]
	s_wait_alu 0xfffe
	v_mov_b32_e32 v2, s44
	s_add_nc_u64 s[40:41], s[16:17], s[40:41]
	s_add_nc_u64 s[2:3], s[10:11], s[2:3]
	s_wait_loadcnt 0x0
	s_clause 0x2
	global_store_b32 v12, v1, s[42:43]
	global_store_b32 v12, v13, s[40:41]
	;; [unrolled: 1-line block ×3, first 2 shown]
	s_branch .LBB3_2
.LBB3_85:
	s_endpgm
	.section	.rodata,"a",@progbits
	.p2align	6, 0x0
	.amdhsa_kernel _ZN9rocsolver6v33100L22stebz_bisection_kernelIfPfEEv15rocblas_erange_iT_T0_iiS5_iiPiPS4_lS6_lS6_lS6_S6_S7_S7_S7_S7_S6_S4_S4_
		.amdhsa_group_segment_fixed_size 4616
		.amdhsa_private_segment_fixed_size 0
		.amdhsa_kernarg_size 168
		.amdhsa_user_sgpr_count 2
		.amdhsa_user_sgpr_dispatch_ptr 0
		.amdhsa_user_sgpr_queue_ptr 0
		.amdhsa_user_sgpr_kernarg_segment_ptr 1
		.amdhsa_user_sgpr_dispatch_id 0
		.amdhsa_user_sgpr_private_segment_size 0
		.amdhsa_wavefront_size32 1
		.amdhsa_uses_dynamic_stack 0
		.amdhsa_enable_private_segment 0
		.amdhsa_system_sgpr_workgroup_id_x 1
		.amdhsa_system_sgpr_workgroup_id_y 1
		.amdhsa_system_sgpr_workgroup_id_z 0
		.amdhsa_system_sgpr_workgroup_info 0
		.amdhsa_system_vgpr_workitem_id 0
		.amdhsa_next_free_vgpr 21
		.amdhsa_next_free_sgpr 73
		.amdhsa_reserve_vcc 1
		.amdhsa_float_round_mode_32 0
		.amdhsa_float_round_mode_16_64 0
		.amdhsa_float_denorm_mode_32 3
		.amdhsa_float_denorm_mode_16_64 3
		.amdhsa_fp16_overflow 0
		.amdhsa_workgroup_processor_mode 1
		.amdhsa_memory_ordered 1
		.amdhsa_forward_progress 1
		.amdhsa_inst_pref_size 37
		.amdhsa_round_robin_scheduling 0
		.amdhsa_exception_fp_ieee_invalid_op 0
		.amdhsa_exception_fp_denorm_src 0
		.amdhsa_exception_fp_ieee_div_zero 0
		.amdhsa_exception_fp_ieee_overflow 0
		.amdhsa_exception_fp_ieee_underflow 0
		.amdhsa_exception_fp_ieee_inexact 0
		.amdhsa_exception_int_div_zero 0
	.end_amdhsa_kernel
	.section	.text._ZN9rocsolver6v33100L22stebz_bisection_kernelIfPfEEv15rocblas_erange_iT_T0_iiS5_iiPiPS4_lS6_lS6_lS6_S6_S7_S7_S7_S7_S6_S4_S4_,"axG",@progbits,_ZN9rocsolver6v33100L22stebz_bisection_kernelIfPfEEv15rocblas_erange_iT_T0_iiS5_iiPiPS4_lS6_lS6_lS6_S6_S7_S7_S7_S7_S6_S4_S4_,comdat
.Lfunc_end3:
	.size	_ZN9rocsolver6v33100L22stebz_bisection_kernelIfPfEEv15rocblas_erange_iT_T0_iiS5_iiPiPS4_lS6_lS6_lS6_S6_S7_S7_S7_S7_S6_S4_S4_, .Lfunc_end3-_ZN9rocsolver6v33100L22stebz_bisection_kernelIfPfEEv15rocblas_erange_iT_T0_iiS5_iiPiPS4_lS6_lS6_lS6_S6_S7_S7_S7_S7_S6_S4_S4_
                                        ; -- End function
	.set _ZN9rocsolver6v33100L22stebz_bisection_kernelIfPfEEv15rocblas_erange_iT_T0_iiS5_iiPiPS4_lS6_lS6_lS6_S6_S7_S7_S7_S7_S6_S4_S4_.num_vgpr, 21
	.set _ZN9rocsolver6v33100L22stebz_bisection_kernelIfPfEEv15rocblas_erange_iT_T0_iiS5_iiPiPS4_lS6_lS6_lS6_S6_S7_S7_S7_S7_S6_S4_S4_.num_agpr, 0
	.set _ZN9rocsolver6v33100L22stebz_bisection_kernelIfPfEEv15rocblas_erange_iT_T0_iiS5_iiPiPS4_lS6_lS6_lS6_S6_S7_S7_S7_S7_S6_S4_S4_.numbered_sgpr, 73
	.set _ZN9rocsolver6v33100L22stebz_bisection_kernelIfPfEEv15rocblas_erange_iT_T0_iiS5_iiPiPS4_lS6_lS6_lS6_S6_S7_S7_S7_S7_S6_S4_S4_.num_named_barrier, 0
	.set _ZN9rocsolver6v33100L22stebz_bisection_kernelIfPfEEv15rocblas_erange_iT_T0_iiS5_iiPiPS4_lS6_lS6_lS6_S6_S7_S7_S7_S7_S6_S4_S4_.private_seg_size, 0
	.set _ZN9rocsolver6v33100L22stebz_bisection_kernelIfPfEEv15rocblas_erange_iT_T0_iiS5_iiPiPS4_lS6_lS6_lS6_S6_S7_S7_S7_S7_S6_S4_S4_.uses_vcc, 1
	.set _ZN9rocsolver6v33100L22stebz_bisection_kernelIfPfEEv15rocblas_erange_iT_T0_iiS5_iiPiPS4_lS6_lS6_lS6_S6_S7_S7_S7_S7_S6_S4_S4_.uses_flat_scratch, 0
	.set _ZN9rocsolver6v33100L22stebz_bisection_kernelIfPfEEv15rocblas_erange_iT_T0_iiS5_iiPiPS4_lS6_lS6_lS6_S6_S7_S7_S7_S7_S6_S4_S4_.has_dyn_sized_stack, 0
	.set _ZN9rocsolver6v33100L22stebz_bisection_kernelIfPfEEv15rocblas_erange_iT_T0_iiS5_iiPiPS4_lS6_lS6_lS6_S6_S7_S7_S7_S7_S6_S4_S4_.has_recursion, 0
	.set _ZN9rocsolver6v33100L22stebz_bisection_kernelIfPfEEv15rocblas_erange_iT_T0_iiS5_iiPiPS4_lS6_lS6_lS6_S6_S7_S7_S7_S7_S6_S4_S4_.has_indirect_call, 0
	.section	.AMDGPU.csdata,"",@progbits
; Kernel info:
; codeLenInByte = 4612
; TotalNumSgprs: 75
; NumVgprs: 21
; ScratchSize: 0
; MemoryBound: 0
; FloatMode: 240
; IeeeMode: 1
; LDSByteSize: 4616 bytes/workgroup (compile time only)
; SGPRBlocks: 0
; VGPRBlocks: 2
; NumSGPRsForWavesPerEU: 75
; NumVGPRsForWavesPerEU: 21
; Occupancy: 16
; WaveLimiterHint : 1
; COMPUTE_PGM_RSRC2:SCRATCH_EN: 0
; COMPUTE_PGM_RSRC2:USER_SGPR: 2
; COMPUTE_PGM_RSRC2:TRAP_HANDLER: 0
; COMPUTE_PGM_RSRC2:TGID_X_EN: 1
; COMPUTE_PGM_RSRC2:TGID_Y_EN: 1
; COMPUTE_PGM_RSRC2:TGID_Z_EN: 0
; COMPUTE_PGM_RSRC2:TIDIG_COMP_CNT: 0
	.section	.text._ZN9rocsolver6v33100L22stebz_synthesis_kernelIfPfEEv15rocblas_erange_15rocblas_eorder_iiiT0_iiPiS6_PT_lS6_lS6_liS6_S8_S8_S8_S8_S6_S7_,"axG",@progbits,_ZN9rocsolver6v33100L22stebz_synthesis_kernelIfPfEEv15rocblas_erange_15rocblas_eorder_iiiT0_iiPiS6_PT_lS6_lS6_liS6_S8_S8_S8_S8_S6_S7_,comdat
	.globl	_ZN9rocsolver6v33100L22stebz_synthesis_kernelIfPfEEv15rocblas_erange_15rocblas_eorder_iiiT0_iiPiS6_PT_lS6_lS6_liS6_S8_S8_S8_S8_S6_S7_ ; -- Begin function _ZN9rocsolver6v33100L22stebz_synthesis_kernelIfPfEEv15rocblas_erange_15rocblas_eorder_iiiT0_iiPiS6_PT_lS6_lS6_liS6_S8_S8_S8_S8_S6_S7_
	.p2align	8
	.type	_ZN9rocsolver6v33100L22stebz_synthesis_kernelIfPfEEv15rocblas_erange_15rocblas_eorder_iiiT0_iiPiS6_PT_lS6_lS6_liS6_S8_S8_S8_S8_S6_S7_,@function
_ZN9rocsolver6v33100L22stebz_synthesis_kernelIfPfEEv15rocblas_erange_15rocblas_eorder_iiiT0_iiPiS6_PT_lS6_lS6_liS6_S8_S8_S8_S8_S6_S7_: ; @_ZN9rocsolver6v33100L22stebz_synthesis_kernelIfPfEEv15rocblas_erange_15rocblas_eorder_iiiT0_iiPiS6_PT_lS6_lS6_liS6_S8_S8_S8_S8_S6_S7_
; %bb.0:
	s_clause 0x1
	s_load_b32 s2, s[0:1], 0xb4
	s_load_b32 s3, s[0:1], 0x68
	s_wait_kmcnt 0x0
	s_and_b32 s2, s2, 0xffff
	s_delay_alu instid0(SALU_CYCLE_1)
	v_mad_co_u64_u32 v[8:9], null, ttmp9, s2, v[0:1]
	s_mov_b32 s2, exec_lo
	v_cmpx_gt_i32_e64 s3, v8
	s_cbranch_execz .LBB4_61
; %bb.1:
	s_load_b512 s[4:19], s[0:1], 0x28
	v_ashrrev_i32_e32 v9, 31, v8
	s_load_b256 s[20:27], s[0:1], 0x70
	s_delay_alu instid0(VALU_DEP_1) | instskip(SKIP_1) | instid1(VALU_DEP_1)
	v_lshlrev_b64_e32 v[4:5], 2, v[8:9]
	s_wait_kmcnt 0x0
	v_add_co_u32 v0, vcc_lo, s6, v4
	s_delay_alu instid0(VALU_DEP_1)
	v_add_co_ci_u32_e64 v1, null, s7, v5, vcc_lo
	v_mul_lo_u32 v6, s11, v8
	v_mul_lo_u32 v7, s10, v9
	;; [unrolled: 1-line block ×3, first 2 shown]
	global_load_b32 v26, v[0:1], off
	s_clause 0x1
	s_load_b128 s[28:31], s[0:1], 0x0
	s_load_b32 s33, s[0:1], 0x10
	v_mad_co_u64_u32 v[0:1], null, s10, v8, 0
	v_mul_lo_u32 v12, s14, v9
	v_mad_co_u64_u32 v[2:3], null, s14, v8, 0
	v_mul_lo_u32 v13, s19, v8
	v_mul_lo_u32 v15, s18, v9
	v_mad_co_u64_u32 v[9:10], null, s18, v8, 0
	v_add3_u32 v1, v1, v7, v6
	v_add3_u32 v3, v3, v12, v11
	s_delay_alu instid0(VALU_DEP_2) | instskip(NEXT) | instid1(VALU_DEP_4)
	v_lshlrev_b64_e32 v[6:7], 2, v[0:1]
	v_add3_u32 v10, v10, v15, v13
	s_delay_alu instid0(VALU_DEP_3)
	v_lshlrev_b64_e32 v[12:13], 2, v[2:3]
	s_wait_kmcnt 0x0
	v_mul_lo_u32 v14, v8, s30
	s_cmp_eq_u32 s28, 0xe9
	v_lshlrev_b64_e32 v[9:10], 2, v[9:10]
	v_add_co_u32 v0, vcc_lo, s8, v6
	s_wait_alu 0xfffd
	v_add_co_ci_u32_e64 v1, null, s9, v7, vcc_lo
	v_add_co_u32 v2, vcc_lo, s12, v12
	v_ashrrev_i32_e32 v15, 31, v14
	s_wait_alu 0xfffd
	v_add_co_ci_u32_e64 v3, null, s13, v13, vcc_lo
	v_add_co_u32 v28, vcc_lo, s16, v9
	s_delay_alu instid0(VALU_DEP_3) | instskip(SKIP_2) | instid1(VALU_DEP_2)
	v_lshlrev_b64_e32 v[14:15], 2, v[14:15]
	s_wait_alu 0xfffd
	v_add_co_ci_u32_e64 v30, null, s17, v10, vcc_lo
	v_add_co_u32 v27, vcc_lo, s20, v14
	s_wait_alu 0xfffd
	s_delay_alu instid0(VALU_DEP_3)
	v_add_co_ci_u32_e64 v29, null, s21, v15, vcc_lo
	s_wait_loadcnt 0x0
	v_cmp_gt_i32_e64 s2, 1, v26
	v_cmp_lt_i32_e32 vcc_lo, 0, v26
	s_cbranch_scc1 .LBB4_12
; %bb.2:
	v_mov_b32_e32 v10, 0
	s_and_saveexec_b32 s14, vcc_lo
	s_cbranch_execz .LBB4_14
; %bb.3:
	v_mov_b32_e32 v10, 0
	s_mov_b32 s7, 0
	s_mov_b32 s15, 0
	s_wait_alu 0xfffe
	s_mov_b32 s6, s7
	s_branch .LBB4_5
.LBB4_4:                                ;   in Loop: Header=BB4_5 Depth=1
	s_wait_alu 0xfffe
	s_or_b32 exec_lo, exec_lo, s10
	s_add_co_i32 s6, s6, 1
	s_wait_alu 0xfffe
	v_cmp_eq_u32_e32 vcc_lo, s6, v26
	s_or_b32 s15, vcc_lo, s15
	s_wait_alu 0xfffe
	s_and_not1_b32 exec_lo, exec_lo, s15
	s_cbranch_execz .LBB4_13
.LBB4_5:                                ; =>This Loop Header: Depth=1
                                        ;     Child Loop BB4_10 Depth 2
	s_wait_alu 0xfffe
	s_cmp_eq_u32 s6, 0
	s_cbranch_scc1 .LBB4_7
; %bb.6:                                ;   in Loop: Header=BB4_5 Depth=1
	s_lshl_b64 s[10:11], s[6:7], 2
	s_wait_alu 0xfffe
	v_add_co_u32 v14, vcc_lo, v28, s10
	s_wait_alu 0xfffd
	v_add_co_ci_u32_e64 v15, null, s11, v30, vcc_lo
	s_mov_b64 s[10:11], s[6:7]
	global_load_b32 v16, v[14:15], off offset:-4
	s_branch .LBB4_8
.LBB4_7:                                ;   in Loop: Header=BB4_5 Depth=1
	v_mov_b32_e32 v16, 0
	s_mov_b64 s[10:11], 0
.LBB4_8:                                ;   in Loop: Header=BB4_5 Depth=1
	s_wait_alu 0xfffe
	s_lshl_b64 s[10:11], s[10:11], 2
	s_wait_alu 0xfffe
	v_add_co_u32 v14, vcc_lo, v27, s10
	s_wait_alu 0xfffd
	v_add_co_ci_u32_e64 v15, null, s11, v29, vcc_lo
	s_mov_b32 s10, exec_lo
	global_load_b32 v9, v[14:15], off
	s_wait_loadcnt 0x0
	v_cmpx_lt_i32_e32 0, v9
	s_cbranch_execz .LBB4_4
; %bb.9:                                ;   in Loop: Header=BB4_5 Depth=1
	v_ashrrev_i32_e32 v17, 31, v16
	v_ashrrev_i32_e32 v11, 31, v10
	v_dual_mov_b32 v21, v3 :: v_dual_mov_b32 v20, v2
	v_dual_mov_b32 v23, v1 :: v_dual_mov_b32 v22, v0
	s_delay_alu instid0(VALU_DEP_4) | instskip(NEXT) | instid1(VALU_DEP_4)
	v_lshlrev_b64_e32 v[16:17], 2, v[16:17]
	v_lshlrev_b64_e32 v[18:19], 2, v[10:11]
	s_mov_b32 s11, 0
	s_mov_b32 s16, 0
.LBB4_10:                               ;   Parent Loop BB4_5 Depth=1
                                        ; =>  This Inner Loop Header: Depth=2
	s_delay_alu instid0(VALU_DEP_2)
	v_add_co_u32 v24, vcc_lo, v20, v16
	s_wait_alu 0xfffd
	v_add_co_ci_u32_e64 v25, null, v21, v17, vcc_lo
	s_wait_alu 0xfffe
	s_add_co_i32 s16, s16, 1
	global_load_b32 v9, v[24:25], off
	v_add_co_u32 v24, vcc_lo, v20, v18
	s_wait_alu 0xfffd
	v_add_co_ci_u32_e64 v25, null, v21, v19, vcc_lo
	v_add_co_u32 v31, vcc_lo, v22, v16
	s_wait_alu 0xfffd
	v_add_co_ci_u32_e64 v32, null, v23, v17, vcc_lo
	global_load_b32 v11, v[31:32], off
	s_wait_loadcnt 0x1
	global_store_b32 v[24:25], v9, off
	global_load_b32 v9, v[14:15], off
	v_add_co_u32 v24, vcc_lo, v22, v18
	s_wait_alu 0xfffd
	v_add_co_ci_u32_e64 v25, null, v23, v19, vcc_lo
	v_add_co_u32 v22, vcc_lo, v22, 4
	s_wait_alu 0xfffd
	v_add_co_ci_u32_e64 v23, null, 0, v23, vcc_lo
	;; [unrolled: 3-line block ×3, first 2 shown]
	s_wait_loadcnt 0x1
	global_store_b32 v[24:25], v11, off
	s_wait_loadcnt 0x0
	s_wait_alu 0xfffe
	v_cmp_ge_i32_e64 s3, s16, v9
	v_add_nc_u32_e32 v9, s16, v10
	s_or_b32 s11, s3, s11
	s_wait_alu 0xfffe
	s_and_not1_b32 exec_lo, exec_lo, s11
	s_cbranch_execnz .LBB4_10
; %bb.11:                               ;   in Loop: Header=BB4_5 Depth=1
	s_or_b32 exec_lo, exec_lo, s11
	v_mov_b32_e32 v10, v9
	s_branch .LBB4_4
.LBB4_12:
                                        ; implicit-def: $vgpr10
	s_branch .LBB4_15
.LBB4_13:
	s_or_b32 exec_lo, exec_lo, s15
.LBB4_14:
	s_wait_alu 0xfffe
	s_or_b32 exec_lo, exec_lo, s14
	s_cbranch_execnz .LBB4_53
.LBB4_15:
	v_add_co_u32 v9, vcc_lo, s22, v4
	s_wait_alu 0xfffd
	v_add_co_ci_u32_e64 v10, null, s23, v5, vcc_lo
	s_load_b128 s[16:19], s[0:1], 0x90
	v_lshlrev_b32_e32 v14, 1, v8
                                        ; implicit-def: $sgpr6_sgpr7
	global_load_b32 v25, v[9:10], off
	v_mul_lo_u32 v10, v14, s30
	s_delay_alu instid0(VALU_DEP_1)
	v_ashrrev_i32_e32 v11, 31, v10
	s_and_saveexec_b32 s3, s2
	s_wait_alu 0xfffe
	s_xor_b32 s2, exec_lo, s3
; %bb.16:
	s_ashr_i32 s7, s30, 31
	s_mov_b32 s6, s30
                                        ; implicit-def: $vgpr26
                                        ; implicit-def: $vgpr27
                                        ; implicit-def: $vgpr29
                                        ; implicit-def: $vgpr28
                                        ; implicit-def: $vgpr30
                                        ; implicit-def: $vgpr12_vgpr13
; %bb.17:
	s_wait_alu 0xfffe
	s_or_saveexec_b32 s20, s2
	v_lshlrev_b64_e32 v[15:16], 2, v[10:11]
	v_mov_b32_e32 v11, s7
	v_dual_mov_b32 v9, 0 :: v_dual_mov_b32 v10, s6
	s_wait_alu 0xfffe
	s_xor_b32 exec_lo, exec_lo, s20
	s_cbranch_execz .LBB4_28
; %bb.18:
	v_add_co_u32 v31, vcc_lo, s8, v6
	s_wait_alu 0xfffd
	v_add_co_ci_u32_e64 v32, null, s9, v7, vcc_lo
	v_add_co_u32 v33, vcc_lo, s12, v12
	s_wait_alu 0xfffd
	v_add_co_ci_u32_e64 v13, null, s13, v13, vcc_lo
	s_wait_kmcnt 0x0
	v_add_co_u32 v34, vcc_lo, s16, v15
	s_wait_alu 0xfffd
	v_add_co_ci_u32_e64 v35, null, s17, v16, vcc_lo
	v_add_co_u32 v36, vcc_lo, s18, v15
	s_wait_alu 0xfffd
	v_add_co_ci_u32_e64 v37, null, s19, v16, vcc_lo
	v_mov_b32_e32 v9, 0
	s_ashr_i32 s7, s30, 31
	s_mov_b32 s6, s30
	s_mov_b32 s15, 0
	s_wait_alu 0xfffe
	s_lshl_b64 s[10:11], s[6:7], 2
	s_mov_b32 s21, 0
	s_mov_b32 s14, s15
	s_branch .LBB4_20
.LBB4_19:                               ;   in Loop: Header=BB4_20 Depth=1
	s_wait_alu 0xfffe
	s_or_b32 exec_lo, exec_lo, s3
	s_add_co_i32 s14, s14, 1
	s_wait_alu 0xfffe
	v_cmp_eq_u32_e32 vcc_lo, s14, v26
	s_or_b32 s21, vcc_lo, s21
	s_wait_alu 0xfffe
	s_and_not1_b32 exec_lo, exec_lo, s21
	s_cbranch_execz .LBB4_27
.LBB4_20:                               ; =>This Loop Header: Depth=1
                                        ;     Child Loop BB4_25 Depth 2
	s_wait_alu 0xfffe
	s_cmp_eq_u32 s14, 0
	s_cbranch_scc1 .LBB4_22
; %bb.21:                               ;   in Loop: Header=BB4_20 Depth=1
	s_lshl_b64 s[2:3], s[14:15], 2
	s_wait_alu 0xfffe
	v_add_co_u32 v10, vcc_lo, v28, s2
	s_wait_alu 0xfffd
	v_add_co_ci_u32_e64 v11, null, s3, v30, vcc_lo
	s_mov_b64 s[2:3], s[14:15]
	global_load_b32 v17, v[10:11], off offset:-4
	s_branch .LBB4_23
.LBB4_22:                               ;   in Loop: Header=BB4_20 Depth=1
	v_mov_b32_e32 v17, 0
	s_mov_b64 s[2:3], 0
.LBB4_23:                               ;   in Loop: Header=BB4_20 Depth=1
	s_wait_alu 0xfffe
	s_lshl_b64 s[2:3], s[2:3], 2
	s_wait_alu 0xfffe
	v_add_co_u32 v11, vcc_lo, v27, s2
	s_wait_alu 0xfffd
	v_add_co_ci_u32_e64 v12, null, s3, v29, vcc_lo
	s_mov_b32 s3, exec_lo
	global_load_b32 v10, v[11:12], off
	s_wait_loadcnt 0x0
	v_cmpx_lt_i32_e32 0, v10
	s_cbranch_execz .LBB4_19
; %bb.24:                               ;   in Loop: Header=BB4_20 Depth=1
	v_ashrrev_i32_e32 v18, 31, v17
	v_ashrrev_i32_e32 v10, 31, v9
	s_mov_b32 s22, 0
	s_mov_b32 s23, 0
	s_delay_alu instid0(VALU_DEP_2) | instskip(NEXT) | instid1(VALU_DEP_2)
	v_lshlrev_b64_e32 v[19:20], 2, v[17:18]
	v_lshlrev_b64_e32 v[23:24], 2, v[9:10]
	s_delay_alu instid0(VALU_DEP_2) | instskip(SKIP_1) | instid1(VALU_DEP_3)
	v_add_co_u32 v17, vcc_lo, v31, v19
	s_wait_alu 0xfffd
	v_add_co_ci_u32_e64 v18, null, v32, v20, vcc_lo
	v_add_co_u32 v19, vcc_lo, v33, v19
	s_wait_alu 0xfffd
	v_add_co_ci_u32_e64 v20, null, v13, v20, vcc_lo
	;; [unrolled: 3-line block ×4, first 2 shown]
.LBB4_25:                               ;   Parent Loop BB4_20 Depth=1
                                        ; =>  This Inner Loop Header: Depth=2
	global_load_b32 v10, v[19:20], off
	v_add_co_u32 v38, vcc_lo, v21, s10
	s_wait_alu 0xfffd
	v_add_co_ci_u32_e64 v39, null, s11, v22, vcc_lo
	s_wait_alu 0xfffe
	s_add_co_i32 s23, s23, 1
	s_wait_loadcnt 0x0
	global_store_b32 v[23:24], v10, off
	global_load_b32 v40, v[11:12], off
	global_load_b32 v41, v[17:18], off
	v_add_co_u32 v17, vcc_lo, v17, 4
	s_wait_alu 0xfffd
	v_add_co_ci_u32_e64 v18, null, 0, v18, vcc_lo
	v_add_co_u32 v19, vcc_lo, v19, 4
	s_wait_alu 0xfffd
	v_add_co_ci_u32_e64 v20, null, 0, v20, vcc_lo
	v_add_co_u32 v23, s2, v23, 4
	s_wait_alu 0xfffe
	v_add_nc_u32_e32 v10, s23, v9
	s_wait_alu 0xf1ff
	v_add_co_ci_u32_e64 v24, null, 0, v24, s2
	s_wait_loadcnt 0x0
	global_store_b32 v[21:22], v41, off
	v_add_co_u32 v21, vcc_lo, v21, 4
	s_wait_alu 0xfffd
	v_add_co_ci_u32_e64 v22, null, 0, v22, vcc_lo
	v_cmp_ge_i32_e32 vcc_lo, s23, v40
	global_store_b32 v[38:39], v41, off
	s_or_b32 s22, vcc_lo, s22
	s_wait_alu 0xfffe
	s_and_not1_b32 exec_lo, exec_lo, s22
	s_cbranch_execnz .LBB4_25
; %bb.26:                               ;   in Loop: Header=BB4_20 Depth=1
	s_or_b32 exec_lo, exec_lo, s22
	v_mov_b32_e32 v9, v10
	s_branch .LBB4_19
.LBB4_27:
	s_or_b32 exec_lo, exec_lo, s21
	v_dual_mov_b32 v11, s7 :: v_dual_mov_b32 v10, s6
.LBB4_28:
	s_or_b32 exec_lo, exec_lo, s20
; %bb.29:
	s_delay_alu instid0(VALU_DEP_1)
	v_lshlrev_b64_e32 v[10:11], 2, v[10:11]
	s_wait_kmcnt 0x0
	v_add_co_u32 v24, vcc_lo, s16, v15
	s_wait_alu 0xfffd
	v_add_co_ci_u32_e64 v26, null, s17, v16, vcc_lo
	v_add_co_u32 v27, vcc_lo, s18, v15
	s_wait_alu 0xfffd
	v_add_co_ci_u32_e64 v28, null, s19, v16, vcc_lo
	v_add_co_u32 v12, vcc_lo, v24, v10
	s_wait_alu 0xfffd
	v_add_co_ci_u32_e64 v13, null, v26, v11, vcc_lo
	s_mov_b32 s6, 1
	s_mov_b32 s3, exec_lo
	v_cmpx_lt_i32_e32 1, v9
	s_cbranch_execz .LBB4_37
; %bb.30:
	v_add_co_u32 v15, vcc_lo, v10, v15
	s_wait_alu 0xfffd
	v_add_co_ci_u32_e64 v16, null, v11, v16, vcc_lo
	v_add_co_u32 v20, vcc_lo, v27, v10
	s_wait_alu 0xfffd
	v_add_co_ci_u32_e64 v21, null, v28, v11, vcc_lo
	v_add_co_u32 v10, vcc_lo, s16, v15
	s_wait_alu 0xfffd
	v_add_co_ci_u32_e64 v11, null, s17, v16, vcc_lo
	s_cmp_lg_u64 s[18:19], 0
	v_add_co_u32 v10, vcc_lo, v10, 4
	s_wait_alu 0xfffd
	v_add_co_ci_u32_e64 v11, null, 0, v11, vcc_lo
	s_cselect_b32 s14, -1, 0
	s_mov_b32 s15, 0
	s_branch .LBB4_32
.LBB4_31:                               ;   in Loop: Header=BB4_32 Depth=1
	s_wait_alu 0xfffe
	s_or_b32 exec_lo, exec_lo, s2
	s_add_co_i32 s6, s6, 1
	v_add_co_u32 v10, s2, v10, 4
	s_wait_alu 0xfffe
	v_cmp_eq_u32_e32 vcc_lo, s6, v9
	s_wait_alu 0xf1ff
	v_add_co_ci_u32_e64 v11, null, 0, v11, s2
	s_or_b32 s15, vcc_lo, s15
	s_wait_alu 0xfffe
	s_and_not1_b32 exec_lo, exec_lo, s15
	s_cbranch_execz .LBB4_37
.LBB4_32:                               ; =>This Loop Header: Depth=1
                                        ;     Child Loop BB4_33 Depth 2
	s_wait_alu 0xfffe
	s_ashr_i32 s7, s6, 31
	v_mov_b32_e32 v19, v11
	s_wait_alu 0xfffe
	s_lshl_b64 s[10:11], s[6:7], 2
	s_add_co_i32 s7, s6, -1
	s_wait_alu 0xfffe
	v_add_co_u32 v15, vcc_lo, v12, s10
	s_wait_alu 0xfffd
	v_add_co_ci_u32_e64 v16, null, s11, v13, vcc_lo
	v_dual_mov_b32 v17, s7 :: v_dual_mov_b32 v18, v10
	s_mov_b32 s16, 0
	global_load_b32 v22, v[15:16], off offset:-4
	s_mov_b32 s17, s6
	s_wait_loadcnt 0x0
	v_mov_b32_e32 v23, v22
.LBB4_33:                               ;   Parent Loop BB4_32 Depth=1
                                        ; =>  This Inner Loop Header: Depth=2
	global_load_b32 v29, v[18:19], off
	v_add_co_u32 v18, s2, v18, 4
	s_wait_alu 0xf1ff
	v_add_co_ci_u32_e64 v19, null, 0, v19, s2
	s_wait_loadcnt 0x0
	v_cmp_lt_f32_e32 vcc_lo, v29, v23
	s_wait_alu 0xfffc
	v_cndmask_b32_e64 v17, v17, s17, vcc_lo
	s_add_co_i32 s17, s17, 1
	v_cndmask_b32_e32 v23, v23, v29, vcc_lo
	s_wait_alu 0xfffe
	v_cmp_eq_u32_e32 vcc_lo, s17, v9
	s_or_b32 s16, vcc_lo, s16
	s_wait_alu 0xfffe
	s_and_not1_b32 exec_lo, exec_lo, s16
	s_cbranch_execnz .LBB4_33
; %bb.34:                               ;   in Loop: Header=BB4_32 Depth=1
	s_or_b32 exec_lo, exec_lo, s16
	s_delay_alu instid0(SALU_CYCLE_1)
	s_mov_b32 s2, exec_lo
	v_cmpx_ne_u32_e64 s7, v17
	s_cbranch_execz .LBB4_31
; %bb.35:                               ;   in Loop: Header=BB4_32 Depth=1
	v_ashrrev_i32_e32 v18, 31, v17
	s_delay_alu instid0(VALU_DEP_1) | instskip(NEXT) | instid1(VALU_DEP_1)
	v_lshlrev_b64_e32 v[17:18], 2, v[17:18]
	v_add_co_u32 v29, vcc_lo, v12, v17
	s_wait_alu 0xfffd
	s_delay_alu instid0(VALU_DEP_2)
	v_add_co_ci_u32_e64 v30, null, v13, v18, vcc_lo
	s_and_not1_b32 vcc_lo, exec_lo, s14
	s_clause 0x1
	global_store_b32 v[29:30], v22, off
	global_store_b32 v[15:16], v23, off offset:-4
	s_wait_alu 0xfffe
	s_cbranch_vccnz .LBB4_31
; %bb.36:                               ;   in Loop: Header=BB4_32 Depth=1
	v_add_co_u32 v15, vcc_lo, v20, s10
	s_wait_alu 0xfffd
	v_add_co_ci_u32_e64 v16, null, s11, v21, vcc_lo
	v_add_co_u32 v17, vcc_lo, v20, v17
	s_wait_alu 0xfffd
	v_add_co_ci_u32_e64 v18, null, v21, v18, vcc_lo
	s_clause 0x1
	global_load_b32 v19, v[15:16], off offset:-4
	global_load_b32 v22, v[17:18], off
	s_wait_loadcnt 0x1
	global_store_b32 v[17:18], v19, off
	s_wait_loadcnt 0x0
	global_store_b32 v[15:16], v22, off offset:-4
	s_branch .LBB4_31
.LBB4_37:
	s_wait_alu 0xfffe
	s_or_b32 exec_lo, exec_lo, s3
	v_mov_b32_e32 v10, 0
	s_mov_b32 s10, exec_lo
	v_cmpx_lt_i32_e32 0, v9
	s_cbranch_execz .LBB4_52
; %bb.38:
	s_load_b128 s[16:19], s[0:1], 0x18
	s_add_co_i32 s1, s30, -1
	v_ashrrev_i32_e32 v15, 31, v14
	s_wait_alu 0xfffe
	v_mul_lo_u32 v10, v8, s1
	v_add_nc_u32_e32 v29, -1, v9
	s_mov_b32 s14, 0
	v_lshlrev_b64_e32 v[14:15], 2, v[14:15]
	s_delay_alu instid0(VALU_DEP_3) | instskip(NEXT) | instid1(VALU_DEP_1)
	v_ashrrev_i32_e32 v11, 31, v10
	v_lshlrev_b64_e32 v[10:11], 2, v[10:11]
	s_wait_kmcnt 0x0
	v_mad_co_i64_i32 v[16:17], null, v8, s19, 0
	s_delay_alu instid0(VALU_DEP_4)
	v_add_co_u32 v8, vcc_lo, s26, v14
	s_ashr_i32 s3, s18, 31
	s_mov_b32 s2, s18
	s_wait_alu 0xfffd
	v_add_co_ci_u32_e64 v30, null, s27, v15, vcc_lo
	v_lshlrev_b64_e32 v[16:17], 2, v[16:17]
	v_add_co_u32 v14, vcc_lo, s24, v10
	s_wait_alu 0xfffe
	s_lshl_b64 s[2:3], s[2:3], 2
	s_wait_alu 0xfffd
	v_add_co_ci_u32_e64 v15, null, s25, v11, vcc_lo
	s_wait_alu 0xfffe
	s_add_nc_u64 s[6:7], s[16:17], s[2:3]
	v_add_co_u32 v10, vcc_lo, s16, v16
	s_wait_alu 0xfffd
	v_add_co_ci_u32_e64 v11, null, s17, v17, vcc_lo
	s_wait_alu 0xfffe
	v_add_co_u32 v18, vcc_lo, s6, v16
	s_wait_alu 0xfffd
	v_add_co_ci_u32_e64 v19, null, s7, v17, vcc_lo
	v_add_co_u32 v16, vcc_lo, v10, s2
	s_wait_alu 0xfffd
	v_add_co_ci_u32_e64 v17, null, s3, v11, vcc_lo
	;; [unrolled: 3-line block ×3, first 2 shown]
	v_mov_b32_e32 v10, 0
	s_cmp_gt_i32 s30, 1
	s_mov_b32 s3, 0
	s_cselect_b32 s11, -1, 0
	s_wait_alu 0xfffe
	s_mov_b32 s2, s3
	s_branch .LBB4_41
.LBB4_39:                               ;   in Loop: Header=BB4_41 Depth=1
	s_wait_alu 0xfffe
	s_or_b32 exec_lo, exec_lo, s0
.LBB4_40:                               ;   in Loop: Header=BB4_41 Depth=1
	s_wait_alu 0xfffe
	s_or_b32 exec_lo, exec_lo, s15
	s_add_co_i32 s2, s2, 1
	s_wait_alu 0xfffe
	v_cmp_eq_u32_e32 vcc_lo, s2, v9
	s_or_b32 s14, vcc_lo, s14
	s_wait_alu 0xfffe
	s_and_not1_b32 exec_lo, exec_lo, s14
	s_cbranch_execz .LBB4_51
.LBB4_41:                               ; =>This Loop Header: Depth=1
                                        ;     Child Loop BB4_43 Depth 2
                                        ;     Child Loop BB4_48 Depth 2
	s_wait_alu 0xfffe
	s_lshl_b64 s[6:7], s[2:3], 2
	v_dual_mov_b32 v23, v13 :: v_dual_mov_b32 v22, v12
	s_wait_alu 0xfffe
	v_add_co_u32 v20, vcc_lo, v24, s6
	s_wait_alu 0xfffd
	v_add_co_ci_u32_e64 v21, null, s7, v26, vcc_lo
	s_mov_b32 s15, s3
	s_mov_b32 s19, s3
                                        ; implicit-def: $sgpr16
                                        ; implicit-def: $sgpr18
                                        ; implicit-def: $sgpr17
	global_load_b32 v31, v[20:21], off
	s_branch .LBB4_43
.LBB4_42:                               ;   in Loop: Header=BB4_43 Depth=2
	s_wait_alu 0xfffe
	s_or_b32 exec_lo, exec_lo, s21
	s_delay_alu instid0(SALU_CYCLE_1)
	s_and_b32 s0, exec_lo, s18
	v_mov_b32_e32 v32, s19
	s_wait_alu 0xfffe
	s_or_b32 s15, s0, s15
	s_and_not1_b32 s0, s16, exec_lo
	s_and_b32 s16, s17, exec_lo
	s_mov_b32 s19, s20
	s_wait_alu 0xfffe
	s_or_b32 s16, s0, s16
	s_and_not1_b32 exec_lo, exec_lo, s15
	s_cbranch_execz .LBB4_45
.LBB4_43:                               ;   Parent Loop BB4_41 Depth=1
                                        ; =>  This Inner Loop Header: Depth=2
	global_load_b32 v11, v[22:23], off
	v_dual_mov_b32 v20, v22 :: v_dual_mov_b32 v21, v23
	s_or_b32 s17, s17, exec_lo
	s_or_b32 s18, s18, exec_lo
	s_mov_b32 s21, exec_lo
                                        ; implicit-def: $sgpr20
                                        ; implicit-def: $vgpr22_vgpr23
	s_wait_loadcnt 0x0
	v_cmpx_neq_f32_e32 v31, v11
	s_cbranch_execz .LBB4_42
; %bb.44:                               ;   in Loop: Header=BB4_43 Depth=2
	s_wait_alu 0xfffe
	s_add_co_i32 s20, s19, 1
	v_add_co_u32 v22, s0, v20, 4
	s_wait_alu 0xfffe
	v_cmp_eq_u32_e32 vcc_lo, s20, v9
	s_wait_alu 0xf1ff
	v_add_co_ci_u32_e64 v23, null, 0, v21, s0
	s_and_not1_b32 s0, s18, exec_lo
	s_and_not1_b32 s17, s17, exec_lo
	s_and_b32 s18, vcc_lo, exec_lo
	s_wait_alu 0xfffe
	s_or_b32 s18, s0, s18
	s_branch .LBB4_42
.LBB4_45:                               ;   in Loop: Header=BB4_41 Depth=1
	s_or_b32 exec_lo, exec_lo, s15
	s_wait_alu 0xfffe
	s_and_saveexec_b32 s0, s16
	s_wait_alu 0xfffe
	s_xor_b32 s15, exec_lo, s0
	s_cbranch_execz .LBB4_40
; %bb.46:                               ;   in Loop: Header=BB4_41 Depth=1
	v_cmp_eq_u32_e32 vcc_lo, v32, v29
	s_wait_alu 0xfffd
	v_dual_cndmask_b32 v21, v21, v30 :: v_dual_cndmask_b32 v20, v20, v8
	s_and_not1_b32 vcc_lo, exec_lo, s11
	global_load_b32 v20, v[20:21], off offset:4
	global_load_b32 v21, v[16:17], off
	s_wait_loadcnt 0x1
	v_sub_f32_e32 v11, v20, v11
	s_delay_alu instid0(VALU_DEP_1) | instskip(SKIP_1) | instid1(VALU_DEP_1)
	v_fma_f32 v32, 0.5, v11, v31
	s_wait_loadcnt 0x0
	v_sub_f32_e32 v22, v21, v32
	s_delay_alu instid0(VALU_DEP_1) | instskip(SKIP_1) | instid1(VALU_DEP_1)
	v_cmp_le_f32_e64 s0, v22, v25
	s_wait_alu 0xf1ff
	v_cndmask_b32_e64 v11, 0, 1, s0
	s_wait_alu 0xfffe
	s_cbranch_vccnz .LBB4_49
; %bb.47:                               ;   in Loop: Header=BB4_41 Depth=1
	v_cmp_gt_f32_e64 s16, v22, -v25
	v_dual_mov_b32 v21, v15 :: v_dual_mov_b32 v20, v14
	s_and_b32 s0, s0, s16
	s_mov_b32 s16, s1
	s_wait_alu 0xfffe
	v_cndmask_b32_e64 v33, v22, -v25, s0
	v_dual_mov_b32 v23, v19 :: v_dual_mov_b32 v22, v18
.LBB4_48:                               ;   Parent Loop BB4_41 Depth=1
                                        ; =>  This Inner Loop Header: Depth=2
	global_load_b32 v34, v[20:21], off
	global_load_b32 v35, v[22:23], off
	s_add_co_i32 s16, s16, -1
	s_wait_loadcnt 0x1
	v_div_scale_f32 v36, null, v33, v33, v34
	v_div_scale_f32 v39, vcc_lo, v34, v33, v34
	s_wait_loadcnt 0x0
	v_sub_f32_e32 v35, v35, v32
	s_delay_alu instid0(VALU_DEP_3) | instskip(NEXT) | instid1(TRANS32_DEP_1)
	v_rcp_f32_e32 v37, v36
	v_fma_f32 v38, -v36, v37, 1.0
	s_delay_alu instid0(VALU_DEP_1) | instskip(NEXT) | instid1(VALU_DEP_1)
	v_fmac_f32_e32 v37, v38, v37
	v_mul_f32_e32 v38, v39, v37
	s_delay_alu instid0(VALU_DEP_1) | instskip(NEXT) | instid1(VALU_DEP_1)
	v_fma_f32 v40, -v36, v38, v39
	v_fmac_f32_e32 v38, v40, v37
	s_delay_alu instid0(VALU_DEP_1) | instskip(SKIP_1) | instid1(VALU_DEP_1)
	v_fma_f32 v36, -v36, v38, v39
	s_wait_alu 0xfffd
	v_div_fmas_f32 v36, v36, v37, v38
	v_add_co_u32 v22, vcc_lo, v22, 4
	s_wait_alu 0xfffd
	v_add_co_ci_u32_e64 v23, null, 0, v23, vcc_lo
	s_delay_alu instid0(VALU_DEP_3) | instskip(SKIP_3) | instid1(VALU_DEP_3)
	v_div_fixup_f32 v33, v36, v33, v34
	v_add_co_u32 v20, vcc_lo, v20, 4
	s_wait_alu 0xfffd
	v_add_co_ci_u32_e64 v21, null, 0, v21, vcc_lo
	v_sub_f32_e32 v33, v35, v33
	s_delay_alu instid0(VALU_DEP_1) | instskip(SKIP_2) | instid1(VALU_DEP_2)
	v_cmp_le_f32_e64 s0, v33, v25
	v_cmp_gt_f32_e64 s17, v33, -v25
	s_wait_alu 0xf1ff
	v_add_co_ci_u32_e64 v11, null, 0, v11, s0
	s_and_b32 s0, s0, s17
	s_wait_alu 0xfffe
	s_cmp_lg_u32 s16, 0
	v_cndmask_b32_e64 v33, v33, -v25, s0
	s_cbranch_scc1 .LBB4_48
.LBB4_49:                               ;   in Loop: Header=BB4_41 Depth=1
	s_delay_alu instid0(VALU_DEP_1)
	v_cmp_le_i32_e32 vcc_lo, s31, v11
	v_cmp_ge_i32_e64 s0, s33, v11
	s_and_b32 s16, vcc_lo, s0
	s_wait_alu 0xfffe
	s_and_saveexec_b32 s0, s16
	s_cbranch_execz .LBB4_39
; %bb.50:                               ;   in Loop: Header=BB4_41 Depth=1
	v_add_co_u32 v20, vcc_lo, v27, s6
	s_wait_alu 0xfffd
	v_add_co_ci_u32_e64 v21, null, s7, v28, vcc_lo
	v_ashrrev_i32_e32 v11, 31, v10
	global_load_b32 v32, v[20:21], off
	v_lshlrev_b64_e32 v[20:21], 2, v[10:11]
	v_add_nc_u32_e32 v10, 1, v10
	s_delay_alu instid0(VALU_DEP_2) | instskip(SKIP_1) | instid1(VALU_DEP_3)
	v_add_co_u32 v22, vcc_lo, v0, v20
	s_wait_alu 0xfffd
	v_add_co_ci_u32_e64 v23, null, v1, v21, vcc_lo
	v_add_co_u32 v20, vcc_lo, v2, v20
	s_wait_alu 0xfffd
	v_add_co_ci_u32_e64 v21, null, v3, v21, vcc_lo
	global_store_b32 v[22:23], v31, off
	s_wait_loadcnt 0x0
	global_store_b32 v[20:21], v32, off
	s_branch .LBB4_39
.LBB4_51:
	s_or_b32 exec_lo, exec_lo, s14
.LBB4_52:
	s_wait_alu 0xfffe
	s_or_b32 exec_lo, exec_lo, s10
.LBB4_53:
	v_add_co_u32 v4, vcc_lo, s4, v4
	s_wait_alu 0xfffd
	v_add_co_ci_u32_e64 v5, null, s5, v5, vcc_lo
	v_cmp_lt_i32_e32 vcc_lo, 1, v10
	s_cmp_eq_u32 s29, 0xf2
	s_mov_b32 s2, 1
	s_cselect_b32 s0, -1, 0
	global_store_b32 v[4:5], v10, off
	s_wait_alu 0xfffe
	s_and_b32 s0, s0, vcc_lo
	s_wait_alu 0xfffe
	s_and_b32 exec_lo, exec_lo, s0
	s_cbranch_execz .LBB4_61
; %bb.54:
	v_add_co_u32 v4, vcc_lo, s8, v6
	s_wait_alu 0xfffd
	v_add_co_ci_u32_e64 v5, null, s9, v7, vcc_lo
	s_cmp_lg_u64 s[12:13], 0
	v_add_co_u32 v4, vcc_lo, v4, 4
	s_wait_alu 0xfffd
	v_add_co_ci_u32_e64 v5, null, 0, v5, vcc_lo
	s_cselect_b32 s1, -1, 0
	s_mov_b32 s6, 0
	s_branch .LBB4_56
.LBB4_55:                               ;   in Loop: Header=BB4_56 Depth=1
	s_wait_alu 0xfffe
	s_or_b32 exec_lo, exec_lo, s0
	s_add_co_i32 s2, s2, 1
	v_add_co_u32 v4, s0, v4, 4
	s_wait_alu 0xfffe
	v_cmp_eq_u32_e32 vcc_lo, s2, v10
	s_wait_alu 0xf1ff
	v_add_co_ci_u32_e64 v5, null, 0, v5, s0
	s_or_b32 s6, vcc_lo, s6
	s_wait_alu 0xfffe
	s_and_not1_b32 exec_lo, exec_lo, s6
	s_cbranch_execz .LBB4_61
.LBB4_56:                               ; =>This Loop Header: Depth=1
                                        ;     Child Loop BB4_57 Depth 2
	s_ashr_i32 s3, s2, 31
	v_mov_b32_e32 v12, v5
	s_wait_alu 0xfffe
	s_lshl_b64 s[4:5], s[2:3], 2
	s_add_co_i32 s3, s2, -1
	s_wait_alu 0xfffe
	v_add_co_u32 v6, vcc_lo, v0, s4
	s_wait_alu 0xfffd
	v_add_co_ci_u32_e64 v7, null, s5, v1, vcc_lo
	v_dual_mov_b32 v8, s3 :: v_dual_mov_b32 v11, v4
	s_mov_b32 s7, 0
	global_load_b32 v13, v[6:7], off offset:-4
	s_mov_b32 s8, s2
	s_wait_loadcnt 0x0
	v_mov_b32_e32 v14, v13
.LBB4_57:                               ;   Parent Loop BB4_56 Depth=1
                                        ; =>  This Inner Loop Header: Depth=2
	global_load_b32 v9, v[11:12], off
	v_add_co_u32 v11, s0, v11, 4
	s_wait_alu 0xf1ff
	v_add_co_ci_u32_e64 v12, null, 0, v12, s0
	s_wait_loadcnt 0x0
	v_cmp_lt_f32_e32 vcc_lo, v9, v14
	s_wait_alu 0xfffc
	v_cndmask_b32_e64 v8, v8, s8, vcc_lo
	s_add_co_i32 s8, s8, 1
	v_cndmask_b32_e32 v14, v14, v9, vcc_lo
	s_wait_alu 0xfffe
	v_cmp_eq_u32_e32 vcc_lo, s8, v10
	s_or_b32 s7, vcc_lo, s7
	s_wait_alu 0xfffe
	s_and_not1_b32 exec_lo, exec_lo, s7
	s_cbranch_execnz .LBB4_57
; %bb.58:                               ;   in Loop: Header=BB4_56 Depth=1
	s_or_b32 exec_lo, exec_lo, s7
	s_delay_alu instid0(SALU_CYCLE_1)
	s_mov_b32 s0, exec_lo
	v_cmpx_ne_u32_e64 s3, v8
	s_cbranch_execz .LBB4_55
; %bb.59:                               ;   in Loop: Header=BB4_56 Depth=1
	v_ashrrev_i32_e32 v9, 31, v8
	s_delay_alu instid0(VALU_DEP_1) | instskip(NEXT) | instid1(VALU_DEP_1)
	v_lshlrev_b64_e32 v[8:9], 2, v[8:9]
	v_add_co_u32 v11, vcc_lo, v0, v8
	s_wait_alu 0xfffd
	s_delay_alu instid0(VALU_DEP_2)
	v_add_co_ci_u32_e64 v12, null, v1, v9, vcc_lo
	s_and_not1_b32 vcc_lo, exec_lo, s1
	s_clause 0x1
	global_store_b32 v[11:12], v13, off
	global_store_b32 v[6:7], v14, off offset:-4
	s_wait_alu 0xfffe
	s_cbranch_vccnz .LBB4_55
; %bb.60:                               ;   in Loop: Header=BB4_56 Depth=1
	v_add_co_u32 v6, vcc_lo, v2, s4
	s_wait_alu 0xfffd
	v_add_co_ci_u32_e64 v7, null, s5, v3, vcc_lo
	v_add_co_u32 v8, vcc_lo, v2, v8
	s_wait_alu 0xfffd
	v_add_co_ci_u32_e64 v9, null, v3, v9, vcc_lo
	s_clause 0x1
	global_load_b32 v11, v[6:7], off offset:-4
	global_load_b32 v12, v[8:9], off
	s_wait_loadcnt 0x1
	global_store_b32 v[8:9], v11, off
	s_wait_loadcnt 0x0
	global_store_b32 v[6:7], v12, off offset:-4
	s_branch .LBB4_55
.LBB4_61:
	s_endpgm
	.section	.rodata,"a",@progbits
	.p2align	6, 0x0
	.amdhsa_kernel _ZN9rocsolver6v33100L22stebz_synthesis_kernelIfPfEEv15rocblas_erange_15rocblas_eorder_iiiT0_iiPiS6_PT_lS6_lS6_liS6_S8_S8_S8_S8_S6_S7_
		.amdhsa_group_segment_fixed_size 0
		.amdhsa_private_segment_fixed_size 0
		.amdhsa_kernarg_size 424
		.amdhsa_user_sgpr_count 2
		.amdhsa_user_sgpr_dispatch_ptr 0
		.amdhsa_user_sgpr_queue_ptr 0
		.amdhsa_user_sgpr_kernarg_segment_ptr 1
		.amdhsa_user_sgpr_dispatch_id 0
		.amdhsa_user_sgpr_private_segment_size 0
		.amdhsa_wavefront_size32 1
		.amdhsa_uses_dynamic_stack 0
		.amdhsa_enable_private_segment 0
		.amdhsa_system_sgpr_workgroup_id_x 1
		.amdhsa_system_sgpr_workgroup_id_y 0
		.amdhsa_system_sgpr_workgroup_id_z 0
		.amdhsa_system_sgpr_workgroup_info 0
		.amdhsa_system_vgpr_workitem_id 0
		.amdhsa_next_free_vgpr 42
		.amdhsa_next_free_sgpr 34
		.amdhsa_reserve_vcc 1
		.amdhsa_float_round_mode_32 0
		.amdhsa_float_round_mode_16_64 0
		.amdhsa_float_denorm_mode_32 3
		.amdhsa_float_denorm_mode_16_64 3
		.amdhsa_fp16_overflow 0
		.amdhsa_workgroup_processor_mode 1
		.amdhsa_memory_ordered 1
		.amdhsa_forward_progress 1
		.amdhsa_inst_pref_size 31
		.amdhsa_round_robin_scheduling 0
		.amdhsa_exception_fp_ieee_invalid_op 0
		.amdhsa_exception_fp_denorm_src 0
		.amdhsa_exception_fp_ieee_div_zero 0
		.amdhsa_exception_fp_ieee_overflow 0
		.amdhsa_exception_fp_ieee_underflow 0
		.amdhsa_exception_fp_ieee_inexact 0
		.amdhsa_exception_int_div_zero 0
	.end_amdhsa_kernel
	.section	.text._ZN9rocsolver6v33100L22stebz_synthesis_kernelIfPfEEv15rocblas_erange_15rocblas_eorder_iiiT0_iiPiS6_PT_lS6_lS6_liS6_S8_S8_S8_S8_S6_S7_,"axG",@progbits,_ZN9rocsolver6v33100L22stebz_synthesis_kernelIfPfEEv15rocblas_erange_15rocblas_eorder_iiiT0_iiPiS6_PT_lS6_lS6_liS6_S8_S8_S8_S8_S6_S7_,comdat
.Lfunc_end4:
	.size	_ZN9rocsolver6v33100L22stebz_synthesis_kernelIfPfEEv15rocblas_erange_15rocblas_eorder_iiiT0_iiPiS6_PT_lS6_lS6_liS6_S8_S8_S8_S8_S6_S7_, .Lfunc_end4-_ZN9rocsolver6v33100L22stebz_synthesis_kernelIfPfEEv15rocblas_erange_15rocblas_eorder_iiiT0_iiPiS6_PT_lS6_lS6_liS6_S8_S8_S8_S8_S6_S7_
                                        ; -- End function
	.set _ZN9rocsolver6v33100L22stebz_synthesis_kernelIfPfEEv15rocblas_erange_15rocblas_eorder_iiiT0_iiPiS6_PT_lS6_lS6_liS6_S8_S8_S8_S8_S6_S7_.num_vgpr, 42
	.set _ZN9rocsolver6v33100L22stebz_synthesis_kernelIfPfEEv15rocblas_erange_15rocblas_eorder_iiiT0_iiPiS6_PT_lS6_lS6_liS6_S8_S8_S8_S8_S6_S7_.num_agpr, 0
	.set _ZN9rocsolver6v33100L22stebz_synthesis_kernelIfPfEEv15rocblas_erange_15rocblas_eorder_iiiT0_iiPiS6_PT_lS6_lS6_liS6_S8_S8_S8_S8_S6_S7_.numbered_sgpr, 34
	.set _ZN9rocsolver6v33100L22stebz_synthesis_kernelIfPfEEv15rocblas_erange_15rocblas_eorder_iiiT0_iiPiS6_PT_lS6_lS6_liS6_S8_S8_S8_S8_S6_S7_.num_named_barrier, 0
	.set _ZN9rocsolver6v33100L22stebz_synthesis_kernelIfPfEEv15rocblas_erange_15rocblas_eorder_iiiT0_iiPiS6_PT_lS6_lS6_liS6_S8_S8_S8_S8_S6_S7_.private_seg_size, 0
	.set _ZN9rocsolver6v33100L22stebz_synthesis_kernelIfPfEEv15rocblas_erange_15rocblas_eorder_iiiT0_iiPiS6_PT_lS6_lS6_liS6_S8_S8_S8_S8_S6_S7_.uses_vcc, 1
	.set _ZN9rocsolver6v33100L22stebz_synthesis_kernelIfPfEEv15rocblas_erange_15rocblas_eorder_iiiT0_iiPiS6_PT_lS6_lS6_liS6_S8_S8_S8_S8_S6_S7_.uses_flat_scratch, 0
	.set _ZN9rocsolver6v33100L22stebz_synthesis_kernelIfPfEEv15rocblas_erange_15rocblas_eorder_iiiT0_iiPiS6_PT_lS6_lS6_liS6_S8_S8_S8_S8_S6_S7_.has_dyn_sized_stack, 0
	.set _ZN9rocsolver6v33100L22stebz_synthesis_kernelIfPfEEv15rocblas_erange_15rocblas_eorder_iiiT0_iiPiS6_PT_lS6_lS6_liS6_S8_S8_S8_S8_S6_S7_.has_recursion, 0
	.set _ZN9rocsolver6v33100L22stebz_synthesis_kernelIfPfEEv15rocblas_erange_15rocblas_eorder_iiiT0_iiPiS6_PT_lS6_lS6_liS6_S8_S8_S8_S8_S6_S7_.has_indirect_call, 0
	.section	.AMDGPU.csdata,"",@progbits
; Kernel info:
; codeLenInByte = 3944
; TotalNumSgprs: 36
; NumVgprs: 42
; ScratchSize: 0
; MemoryBound: 0
; FloatMode: 240
; IeeeMode: 1
; LDSByteSize: 0 bytes/workgroup (compile time only)
; SGPRBlocks: 0
; VGPRBlocks: 5
; NumSGPRsForWavesPerEU: 36
; NumVGPRsForWavesPerEU: 42
; Occupancy: 16
; WaveLimiterHint : 1
; COMPUTE_PGM_RSRC2:SCRATCH_EN: 0
; COMPUTE_PGM_RSRC2:USER_SGPR: 2
; COMPUTE_PGM_RSRC2:TRAP_HANDLER: 0
; COMPUTE_PGM_RSRC2:TGID_X_EN: 1
; COMPUTE_PGM_RSRC2:TGID_Y_EN: 0
; COMPUTE_PGM_RSRC2:TGID_Z_EN: 0
; COMPUTE_PGM_RSRC2:TIDIG_COMP_CNT: 0
	.section	.text._ZN9rocsolver6v33100L18stebz_case1_kernelIdPdEEv15rocblas_erange_T_S4_T0_ilPiS6_PS4_lS6_lS6_li,"axG",@progbits,_ZN9rocsolver6v33100L18stebz_case1_kernelIdPdEEv15rocblas_erange_T_S4_T0_ilPiS6_PS4_lS6_lS6_li,comdat
	.globl	_ZN9rocsolver6v33100L18stebz_case1_kernelIdPdEEv15rocblas_erange_T_S4_T0_ilPiS6_PS4_lS6_lS6_li ; -- Begin function _ZN9rocsolver6v33100L18stebz_case1_kernelIdPdEEv15rocblas_erange_T_S4_T0_ilPiS6_PS4_lS6_lS6_li
	.p2align	8
	.type	_ZN9rocsolver6v33100L18stebz_case1_kernelIdPdEEv15rocblas_erange_T_S4_T0_ilPiS6_PS4_lS6_lS6_li,@function
_ZN9rocsolver6v33100L18stebz_case1_kernelIdPdEEv15rocblas_erange_T_S4_T0_ilPiS6_PS4_lS6_lS6_li: ; @_ZN9rocsolver6v33100L18stebz_case1_kernelIdPdEEv15rocblas_erange_T_S4_T0_ilPiS6_PS4_lS6_lS6_li
; %bb.0:
	s_clause 0x1
	s_load_b32 s2, s[0:1], 0x84
	s_load_b32 s3, s[0:1], 0x70
	s_wait_kmcnt 0x0
	s_and_b32 s2, s2, 0xffff
	s_delay_alu instid0(SALU_CYCLE_1)
	v_mad_co_u64_u32 v[0:1], null, ttmp9, s2, v[0:1]
	s_mov_b32 s2, exec_lo
	v_cmpx_gt_i32_e64 s3, v0
	s_cbranch_execz .LBB5_7
; %bb.1:
	s_load_b512 s[4:19], s[0:1], 0x28
	v_ashrrev_i32_e32 v1, 31, v0
	s_load_b96 s[20:22], s[0:1], 0x18
	v_mov_b32_e32 v10, 1
	s_wait_kmcnt 0x0
	v_mul_lo_u32 v4, s5, v0
	v_mul_lo_u32 v5, s4, v1
	v_mad_co_u64_u32 v[2:3], null, s4, v0, 0
	s_ashr_i32 s3, s22, 31
	s_mov_b32 s2, s22
	s_wait_alu 0xfffe
	s_lshl_b64 s[2:3], s[2:3], 3
	v_add3_u32 v3, v3, v5, v4
	s_delay_alu instid0(VALU_DEP_1) | instskip(NEXT) | instid1(VALU_DEP_1)
	v_lshlrev_b64_e32 v[2:3], 3, v[2:3]
	v_add_co_u32 v2, vcc_lo, s20, v2
	s_delay_alu instid0(VALU_DEP_1) | instskip(SKIP_1) | instid1(VALU_DEP_2)
	v_add_co_ci_u32_e64 v3, null, s21, v3, vcc_lo
	s_wait_alu 0xfffe
	v_add_co_u32 v2, vcc_lo, v2, s2
	s_wait_alu 0xfffd
	s_delay_alu instid0(VALU_DEP_2)
	v_add_co_ci_u32_e64 v3, null, s3, v3, vcc_lo
	s_load_b64 s[2:3], s[0:1], 0x68
	global_load_b64 v[4:5], v[2:3], off
	s_wait_kmcnt 0x0
	v_mul_lo_u32 v2, s3, v0
	v_mul_lo_u32 v3, s2, v1
	v_mad_co_u64_u32 v[6:7], null, s2, v0, 0
	s_load_b32 s2, s[0:1], 0x0
	v_add3_u32 v7, v7, v3, v2
	v_lshlrev_b64_e32 v[2:3], 2, v[0:1]
	s_delay_alu instid0(VALU_DEP_2) | instskip(NEXT) | instid1(VALU_DEP_2)
	v_lshlrev_b64_e32 v[6:7], 2, v[6:7]
	v_add_co_u32 v8, vcc_lo, s8, v2
	s_wait_alu 0xfffd
	s_delay_alu instid0(VALU_DEP_3) | instskip(NEXT) | instid1(VALU_DEP_3)
	v_add_co_ci_u32_e64 v9, null, s9, v3, vcc_lo
	v_add_co_u32 v6, vcc_lo, s18, v6
	s_wait_alu 0xfffd
	v_add_co_ci_u32_e64 v7, null, s19, v7, vcc_lo
	s_wait_kmcnt 0x0
	s_cmp_lg_u32 s2, 0xe8
	global_store_b32 v[8:9], v10, off
	s_cselect_b32 s2, -1, 0
	global_store_b32 v[6:7], v10, off
	s_wait_alu 0xfffe
	s_and_b32 vcc_lo, exec_lo, s2
	s_wait_alu 0xfffe
	s_cbranch_vccnz .LBB5_3
; %bb.2:
	s_load_b128 s[20:23], s[0:1], 0x8
	s_and_not1_b32 s1, s2, exec_lo
	s_wait_loadcnt 0x0
	s_wait_kmcnt 0x0
	v_cmp_nge_f64_e32 vcc_lo, s[20:21], v[4:5]
	v_cmp_nlt_f64_e64 s0, s[22:23], v[4:5]
	s_and_b32 s0, vcc_lo, s0
	s_wait_alu 0xfffe
	s_and_b32 s2, s0, exec_lo
	s_mov_b32 s0, -1
	s_wait_alu 0xfffe
	s_or_b32 s2, s1, s2
	s_wait_alu 0xfffe
	s_and_saveexec_b32 s1, s2
	s_wait_alu 0xfffe
	s_xor_b32 s1, exec_lo, s1
	s_cbranch_execnz .LBB5_4
	s_branch .LBB5_5
.LBB5_3:
	s_mov_b32 s0, 0
	s_and_saveexec_b32 s1, s2
	s_wait_alu 0xfffe
	s_xor_b32 s1, exec_lo, s1
	s_cbranch_execz .LBB5_5
.LBB5_4:
	v_mul_lo_u32 v8, s13, v0
	v_mul_lo_u32 v9, s12, v1
	v_mad_co_u64_u32 v[6:7], null, s12, v0, 0
	v_mul_lo_u32 v10, s17, v0
	v_mul_lo_u32 v11, s16, v1
	v_mad_co_u64_u32 v[0:1], null, s16, v0, 0
	s_and_not1_b32 s0, s0, exec_lo
	v_add3_u32 v7, v7, v9, v8
	v_add_co_u32 v8, vcc_lo, s6, v2
	s_wait_alu 0xfffd
	v_add_co_ci_u32_e64 v9, null, s7, v3, vcc_lo
	v_add3_u32 v1, v1, v11, v10
	v_lshlrev_b64_e32 v[6:7], 3, v[6:7]
	v_mov_b32_e32 v10, 1
	s_delay_alu instid0(VALU_DEP_3) | instskip(NEXT) | instid1(VALU_DEP_3)
	v_lshlrev_b64_e32 v[0:1], 2, v[0:1]
	v_add_co_u32 v6, vcc_lo, s10, v6
	s_wait_alu 0xfffd
	s_delay_alu instid0(VALU_DEP_4) | instskip(NEXT) | instid1(VALU_DEP_3)
	v_add_co_ci_u32_e64 v7, null, s11, v7, vcc_lo
	v_add_co_u32 v0, vcc_lo, s14, v0
	s_wait_alu 0xfffd
	v_add_co_ci_u32_e64 v1, null, s15, v1, vcc_lo
	global_store_b32 v[8:9], v10, off
	s_wait_loadcnt 0x0
	global_store_b64 v[6:7], v[4:5], off
	global_store_b32 v[0:1], v10, off
.LBB5_5:
	s_wait_alu 0xfffe
	s_or_b32 exec_lo, exec_lo, s1
	s_delay_alu instid0(SALU_CYCLE_1)
	s_and_b32 exec_lo, exec_lo, s0
	s_cbranch_execz .LBB5_7
; %bb.6:
	v_add_co_u32 v0, vcc_lo, s6, v2
	s_wait_alu 0xfffd
	v_add_co_ci_u32_e64 v1, null, s7, v3, vcc_lo
	v_mov_b32_e32 v2, 0
	global_store_b32 v[0:1], v2, off
.LBB5_7:
	s_endpgm
	.section	.rodata,"a",@progbits
	.p2align	6, 0x0
	.amdhsa_kernel _ZN9rocsolver6v33100L18stebz_case1_kernelIdPdEEv15rocblas_erange_T_S4_T0_ilPiS6_PS4_lS6_lS6_li
		.amdhsa_group_segment_fixed_size 0
		.amdhsa_private_segment_fixed_size 0
		.amdhsa_kernarg_size 376
		.amdhsa_user_sgpr_count 2
		.amdhsa_user_sgpr_dispatch_ptr 0
		.amdhsa_user_sgpr_queue_ptr 0
		.amdhsa_user_sgpr_kernarg_segment_ptr 1
		.amdhsa_user_sgpr_dispatch_id 0
		.amdhsa_user_sgpr_private_segment_size 0
		.amdhsa_wavefront_size32 1
		.amdhsa_uses_dynamic_stack 0
		.amdhsa_enable_private_segment 0
		.amdhsa_system_sgpr_workgroup_id_x 1
		.amdhsa_system_sgpr_workgroup_id_y 0
		.amdhsa_system_sgpr_workgroup_id_z 0
		.amdhsa_system_sgpr_workgroup_info 0
		.amdhsa_system_vgpr_workitem_id 0
		.amdhsa_next_free_vgpr 12
		.amdhsa_next_free_sgpr 24
		.amdhsa_reserve_vcc 1
		.amdhsa_float_round_mode_32 0
		.amdhsa_float_round_mode_16_64 0
		.amdhsa_float_denorm_mode_32 3
		.amdhsa_float_denorm_mode_16_64 3
		.amdhsa_fp16_overflow 0
		.amdhsa_workgroup_processor_mode 1
		.amdhsa_memory_ordered 1
		.amdhsa_forward_progress 1
		.amdhsa_inst_pref_size 6
		.amdhsa_round_robin_scheduling 0
		.amdhsa_exception_fp_ieee_invalid_op 0
		.amdhsa_exception_fp_denorm_src 0
		.amdhsa_exception_fp_ieee_div_zero 0
		.amdhsa_exception_fp_ieee_overflow 0
		.amdhsa_exception_fp_ieee_underflow 0
		.amdhsa_exception_fp_ieee_inexact 0
		.amdhsa_exception_int_div_zero 0
	.end_amdhsa_kernel
	.section	.text._ZN9rocsolver6v33100L18stebz_case1_kernelIdPdEEv15rocblas_erange_T_S4_T0_ilPiS6_PS4_lS6_lS6_li,"axG",@progbits,_ZN9rocsolver6v33100L18stebz_case1_kernelIdPdEEv15rocblas_erange_T_S4_T0_ilPiS6_PS4_lS6_lS6_li,comdat
.Lfunc_end5:
	.size	_ZN9rocsolver6v33100L18stebz_case1_kernelIdPdEEv15rocblas_erange_T_S4_T0_ilPiS6_PS4_lS6_lS6_li, .Lfunc_end5-_ZN9rocsolver6v33100L18stebz_case1_kernelIdPdEEv15rocblas_erange_T_S4_T0_ilPiS6_PS4_lS6_lS6_li
                                        ; -- End function
	.set _ZN9rocsolver6v33100L18stebz_case1_kernelIdPdEEv15rocblas_erange_T_S4_T0_ilPiS6_PS4_lS6_lS6_li.num_vgpr, 12
	.set _ZN9rocsolver6v33100L18stebz_case1_kernelIdPdEEv15rocblas_erange_T_S4_T0_ilPiS6_PS4_lS6_lS6_li.num_agpr, 0
	.set _ZN9rocsolver6v33100L18stebz_case1_kernelIdPdEEv15rocblas_erange_T_S4_T0_ilPiS6_PS4_lS6_lS6_li.numbered_sgpr, 24
	.set _ZN9rocsolver6v33100L18stebz_case1_kernelIdPdEEv15rocblas_erange_T_S4_T0_ilPiS6_PS4_lS6_lS6_li.num_named_barrier, 0
	.set _ZN9rocsolver6v33100L18stebz_case1_kernelIdPdEEv15rocblas_erange_T_S4_T0_ilPiS6_PS4_lS6_lS6_li.private_seg_size, 0
	.set _ZN9rocsolver6v33100L18stebz_case1_kernelIdPdEEv15rocblas_erange_T_S4_T0_ilPiS6_PS4_lS6_lS6_li.uses_vcc, 1
	.set _ZN9rocsolver6v33100L18stebz_case1_kernelIdPdEEv15rocblas_erange_T_S4_T0_ilPiS6_PS4_lS6_lS6_li.uses_flat_scratch, 0
	.set _ZN9rocsolver6v33100L18stebz_case1_kernelIdPdEEv15rocblas_erange_T_S4_T0_ilPiS6_PS4_lS6_lS6_li.has_dyn_sized_stack, 0
	.set _ZN9rocsolver6v33100L18stebz_case1_kernelIdPdEEv15rocblas_erange_T_S4_T0_ilPiS6_PS4_lS6_lS6_li.has_recursion, 0
	.set _ZN9rocsolver6v33100L18stebz_case1_kernelIdPdEEv15rocblas_erange_T_S4_T0_ilPiS6_PS4_lS6_lS6_li.has_indirect_call, 0
	.section	.AMDGPU.csdata,"",@progbits
; Kernel info:
; codeLenInByte = 716
; TotalNumSgprs: 26
; NumVgprs: 12
; ScratchSize: 0
; MemoryBound: 0
; FloatMode: 240
; IeeeMode: 1
; LDSByteSize: 0 bytes/workgroup (compile time only)
; SGPRBlocks: 0
; VGPRBlocks: 1
; NumSGPRsForWavesPerEU: 26
; NumVGPRsForWavesPerEU: 12
; Occupancy: 16
; WaveLimiterHint : 0
; COMPUTE_PGM_RSRC2:SCRATCH_EN: 0
; COMPUTE_PGM_RSRC2:USER_SGPR: 2
; COMPUTE_PGM_RSRC2:TRAP_HANDLER: 0
; COMPUTE_PGM_RSRC2:TGID_X_EN: 1
; COMPUTE_PGM_RSRC2:TGID_Y_EN: 0
; COMPUTE_PGM_RSRC2:TGID_Z_EN: 0
; COMPUTE_PGM_RSRC2:TIDIG_COMP_CNT: 0
	.section	.text._ZN9rocsolver6v33100L22stebz_splitting_kernelIdPdEEv15rocblas_erange_iT_S4_iiT0_iiS5_iiPiPS4_lS6_lS6_S7_S7_S7_S7_S6_S4_S4_,"axG",@progbits,_ZN9rocsolver6v33100L22stebz_splitting_kernelIdPdEEv15rocblas_erange_iT_S4_iiT0_iiS5_iiPiPS4_lS6_lS6_S7_S7_S7_S7_S6_S4_S4_,comdat
	.globl	_ZN9rocsolver6v33100L22stebz_splitting_kernelIdPdEEv15rocblas_erange_iT_S4_iiT0_iiS5_iiPiPS4_lS6_lS6_S7_S7_S7_S7_S6_S4_S4_ ; -- Begin function _ZN9rocsolver6v33100L22stebz_splitting_kernelIdPdEEv15rocblas_erange_iT_S4_iiT0_iiS5_iiPiPS4_lS6_lS6_S7_S7_S7_S7_S6_S4_S4_
	.p2align	8
	.type	_ZN9rocsolver6v33100L22stebz_splitting_kernelIdPdEEv15rocblas_erange_iT_S4_iiT0_iiS5_iiPiPS4_lS6_lS6_S7_S7_S7_S7_S6_S4_S4_,@function
_ZN9rocsolver6v33100L22stebz_splitting_kernelIdPdEEv15rocblas_erange_iT_S4_iiT0_iiS5_iiPiPS4_lS6_lS6_S7_S7_S7_S7_S6_S4_S4_: ; @_ZN9rocsolver6v33100L22stebz_splitting_kernelIdPdEEv15rocblas_erange_iT_S4_iiT0_iiS5_iiPiPS4_lS6_lS6_S7_S7_S7_S7_S6_S4_S4_
; %bb.0:
	s_load_b64 s[6:7], s[0:1], 0x0
	v_lshlrev_b32_e32 v1, 2, v0
	v_dual_mov_b32 v3, 0 :: v_dual_add_nc_u32 v20, -1, v0
	s_wait_kmcnt 0x0
	s_add_co_i32 s33, s7, -1
	s_delay_alu instid0(SALU_CYCLE_1) | instskip(NEXT) | instid1(SALU_CYCLE_1)
	s_ashr_i32 s2, s33, 31
	s_lshr_b32 s2, s2, 24
	s_delay_alu instid0(SALU_CYCLE_1) | instskip(NEXT) | instid1(SALU_CYCLE_1)
	s_add_co_i32 s2, s33, s2
	s_and_b32 s3, s2, 0xffffff00
	s_ashr_i32 s2, s2, 8
	s_sub_co_i32 s3, s33, s3
	s_delay_alu instid0(SALU_CYCLE_1)
	v_cmp_gt_i32_e32 vcc_lo, s3, v0
	v_add_co_ci_u32_e64 v21, null, s2, 0, vcc_lo
	v_cmp_eq_u32_e64 s2, 0, v0
	v_cmp_ne_u32_e32 vcc_lo, 0, v0
	ds_store_b32 v1, v21 offset:2048
	s_wait_dscnt 0x0
	s_barrier_signal -1
	s_barrier_wait -1
	global_inv scope:SCOPE_SE
	s_and_saveexec_b32 s4, vcc_lo
	s_cbranch_execz .LBB6_10
; %bb.1:
	v_dual_mov_b32 v3, 0 :: v_dual_mov_b32 v2, 0
	s_mov_b32 s5, exec_lo
	v_cmpx_lt_u32_e32 6, v20
	s_cbranch_execz .LBB6_5
; %bb.2:
	v_dual_mov_b32 v3, 0 :: v_dual_and_b32 v2, 0xf8, v0
	s_movk_i32 s9, 0x800
	s_mov_b32 s8, 0
	s_mov_b32 s10, 0
.LBB6_3:                                ; =>This Inner Loop Header: Depth=1
	v_mov_b32_e32 v8, s9
	s_add_co_i32 s10, s10, 8
	s_add_co_i32 s9, s9, 32
	s_wait_alu 0xfffe
	v_cmp_eq_u32_e64 s3, s10, v2
	ds_load_b128 v[4:7], v8
	ds_load_b128 v[8:11], v8 offset:16
	s_or_b32 s8, s3, s8
	s_wait_dscnt 0x1
	v_add_nc_u32_e32 v3, v4, v3
	s_delay_alu instid0(VALU_DEP_1) | instskip(NEXT) | instid1(VALU_DEP_1)
	v_add_nc_u32_e32 v3, v5, v3
	v_add_nc_u32_e32 v3, v6, v3
	s_delay_alu instid0(VALU_DEP_1) | instskip(SKIP_1) | instid1(VALU_DEP_1)
	v_add_nc_u32_e32 v3, v7, v3
	s_wait_dscnt 0x0
	v_add_nc_u32_e32 v3, v8, v3
	s_delay_alu instid0(VALU_DEP_1) | instskip(NEXT) | instid1(VALU_DEP_1)
	v_add_nc_u32_e32 v3, v9, v3
	v_add_nc_u32_e32 v3, v10, v3
	s_delay_alu instid0(VALU_DEP_1)
	v_add_nc_u32_e32 v3, v11, v3
	s_wait_alu 0xfffe
	s_and_not1_b32 exec_lo, exec_lo, s8
	s_cbranch_execnz .LBB6_3
; %bb.4:
	s_or_b32 exec_lo, exec_lo, s8
.LBB6_5:
	s_delay_alu instid0(SALU_CYCLE_1) | instskip(SKIP_3) | instid1(VALU_DEP_1)
	s_or_b32 exec_lo, exec_lo, s5
	v_and_b32_e32 v4, 7, v0
	s_mov_b32 s8, 0
	s_mov_b32 s5, exec_lo
	v_cmpx_ne_u32_e32 0, v4
	s_cbranch_execz .LBB6_9
; %bb.6:
	v_lshl_or_b32 v2, v2, 2, 0x800
.LBB6_7:                                ; =>This Inner Loop Header: Depth=1
	ds_load_b32 v5, v2
	v_add_nc_u32_e32 v4, -1, v4
	v_add_nc_u32_e32 v2, 4, v2
	s_delay_alu instid0(VALU_DEP_2)
	v_cmp_eq_u32_e64 s3, 0, v4
	s_wait_alu 0xfffe
	s_or_b32 s8, s3, s8
	s_wait_dscnt 0x0
	v_add_nc_u32_e32 v3, v5, v3
	s_wait_alu 0xfffe
	s_and_not1_b32 exec_lo, exec_lo, s8
	s_cbranch_execnz .LBB6_7
; %bb.8:
	s_or_b32 exec_lo, exec_lo, s8
.LBB6_9:
	s_delay_alu instid0(SALU_CYCLE_1)
	s_or_b32 exec_lo, exec_lo, s5
.LBB6_10:
	s_delay_alu instid0(SALU_CYCLE_1)
	s_or_b32 exec_lo, exec_lo, s4
	s_clause 0x3
	s_load_b128 s[36:39], s[0:1], 0x20
	s_load_b512 s[8:23], s[0:1], 0x40
	s_load_b64 s[40:41], s[0:1], 0xa0
	s_load_b256 s[24:31], s[0:1], 0x80
	v_ashrrev_i32_e32 v4, 31, v3
	s_mul_i32 s4, s7, ttmp7
	v_or_b32_e32 v19, 0x800, v1
	s_ashr_i32 s5, s4, 31
	v_mov_b32_e32 v5, 0
	v_lshlrev_b64_e32 v[1:2], 2, v[3:4]
	s_lshl_b64 s[4:5], s[4:5], 2
	s_mov_b32 s34, ttmp7
	s_ashr_i32 s35, ttmp7, 31
	s_mul_i32 s42, s33, ttmp7
	s_delay_alu instid0(SALU_CYCLE_1)
	s_ashr_i32 s43, s42, 31
	s_wait_kmcnt 0x0
	s_ashr_i32 s47, s39, 31
	s_add_nc_u64 s[4:5], s[18:19], s[4:5]
	s_mov_b32 s46, s39
	v_add_co_u32 v1, s3, s4, v1
	s_wait_alu 0xf1ff
	v_add_co_ci_u32_e64 v2, null, s5, v2, s3
	s_ashr_i32 s45, s38, 31
	s_mul_u64 s[18:19], s[46:47], s[34:35]
	s_mov_b32 s44, s38
	s_mul_u64 s[12:13], s[12:13], s[34:35]
	s_mov_b32 s5, exec_lo
	v_cmpx_lt_i32_e32 0, v21
	s_cbranch_execz .LBB6_16
; %bb.11:
	s_load_b128 s[48:51], s[0:1], 0x30
	v_lshlrev_b64_e32 v[4:5], 3, v[3:4]
	s_lshl_b64 s[38:39], s[18:19], 3
	s_lshl_b64 s[46:47], s[44:45], 3
	;; [unrolled: 1-line block ×3, first 2 shown]
	s_add_nc_u64 s[38:39], s[38:39], s[46:47]
	s_add_nc_u64 s[46:47], s[22:23], s[52:53]
	s_add_nc_u64 s[38:39], s[36:37], s[38:39]
	s_lshl_b64 s[54:55], s[12:13], 3
	v_add_co_u32 v7, s3, s38, v4
	s_wait_alu 0xf1ff
	v_add_co_ci_u32_e64 v8, null, s39, v5, s3
	v_add_co_u32 v9, s3, s46, v4
	s_add_nc_u64 s[54:55], s[10:11], s[54:55]
	v_add_co_ci_u32_e64 v10, null, s47, v5, s3
	s_wait_kmcnt 0x0
	s_ashr_i32 s53, s51, 31
	s_mov_b32 s52, s51
	s_ashr_i32 s51, s50, 31
	s_mul_u64 s[52:53], s[34:35], s[52:53]
	s_lshl_b64 s[50:51], s[50:51], 3
	s_lshl_b64 s[52:53], s[52:53], 3
	s_delay_alu instid0(SALU_CYCLE_1)
	s_add_nc_u64 s[38:39], s[52:53], s[50:51]
	s_wait_alu 0xfffe
	s_add_nc_u64 s[38:39], s[48:49], s[38:39]
	s_wait_alu 0xfffe
	v_add_co_u32 v11, s3, s38, v4
	s_wait_alu 0xf1ff
	v_add_co_ci_u32_e64 v12, null, s39, v5, s3
	v_add_co_u32 v13, s3, s54, v4
	s_wait_alu 0xf1ff
	v_add_co_ci_u32_e64 v14, null, s55, v5, s3
	v_mov_b32_e32 v5, 0
	s_mov_b32 s38, 0
	s_branch .LBB6_13
.LBB6_12:                               ;   in Loop: Header=BB6_13 Depth=1
	s_wait_alu 0xfffe
	s_or_b32 exec_lo, exec_lo, s4
	v_add_co_u32 v11, s3, v11, 8
	v_add_nc_u32_e32 v21, -1, v21
	s_wait_alu 0xf1ff
	v_add_co_ci_u32_e64 v12, null, 0, v12, s3
	v_add_co_u32 v7, s3, v7, 8
	global_store_b64 v[9:10], v[17:18], off
	global_store_b64 v[13:14], v[15:16], off
	s_wait_alu 0xf1ff
	v_add_co_ci_u32_e64 v8, null, 0, v8, s3
	v_add_co_u32 v9, s3, v9, 8
	s_wait_alu 0xf1ff
	v_add_co_ci_u32_e64 v10, null, 0, v10, s3
	v_cmp_eq_u32_e64 s3, 0, v21
	v_add_co_u32 v13, s4, v13, 8
	v_add_nc_u32_e32 v3, 1, v3
	s_wait_alu 0xf1ff
	v_add_co_ci_u32_e64 v14, null, 0, v14, s4
	s_or_b32 s38, s3, s38
	s_wait_alu 0xfffe
	s_and_not1_b32 exec_lo, exec_lo, s38
	s_cbranch_execz .LBB6_15
.LBB6_13:                               ; =>This Inner Loop Header: Depth=1
	global_load_b128 v[22:25], v[7:8], off
	global_load_b64 v[15:16], v[11:12], off
	s_mov_b32 s4, exec_lo
	s_wait_loadcnt 0x1
	v_mul_f64_e32 v[17:18], v[22:23], v[24:25]
	s_delay_alu instid0(VALU_DEP_1) | instskip(SKIP_2) | instid1(VALU_DEP_2)
	v_mul_f64_e64 v[22:23], s[30:31], |v[17:18]|
	s_wait_loadcnt 0x0
	v_mul_f64_e32 v[17:18], v[15:16], v[15:16]
	v_fma_f64 v[22:23], s[30:31], v[22:23], s[40:41]
	s_delay_alu instid0(VALU_DEP_1)
	v_cmpx_gt_f64_e32 v[22:23], v[17:18]
	s_cbranch_execz .LBB6_12
; %bb.14:                               ;   in Loop: Header=BB6_13 Depth=1
	v_ashrrev_i32_e32 v6, 31, v5
	v_mov_b32_e32 v17, 0
	v_mov_b32_e32 v18, 0
	s_delay_alu instid0(VALU_DEP_3) | instskip(SKIP_1) | instid1(VALU_DEP_2)
	v_lshlrev_b64_e32 v[15:16], 2, v[5:6]
	v_add_nc_u32_e32 v5, 1, v5
	v_add_co_u32 v22, s3, v1, v15
	s_wait_alu 0xf1ff
	s_delay_alu instid0(VALU_DEP_3)
	v_add_co_ci_u32_e64 v23, null, v2, v16, s3
	v_mov_b32_e32 v15, 0
	v_mov_b32_e32 v16, 0
	global_store_b32 v[22:23], v3, off
	s_branch .LBB6_12
.LBB6_15:
	s_or_b32 exec_lo, exec_lo, s38
.LBB6_16:
	s_wait_alu 0xfffe
	s_or_b32 exec_lo, exec_lo, s5
	v_mov_b32_e32 v3, 0
	ds_store_b32 v19, v5
	s_wait_storecnt 0x0
	s_wait_loadcnt_dscnt 0x0
	s_barrier_signal -1
	s_barrier_wait -1
	global_inv scope:SCOPE_SE
	s_and_saveexec_b32 s3, vcc_lo
	s_cbranch_execz .LBB6_26
; %bb.17:
	v_dual_mov_b32 v3, 0 :: v_dual_mov_b32 v4, 0
	s_mov_b32 s4, exec_lo
	v_cmpx_lt_u32_e32 6, v20
	s_cbranch_execz .LBB6_21
; %bb.18:
	v_dual_mov_b32 v3, 0 :: v_dual_and_b32 v4, 0xf8, v0
	s_movk_i32 s38, 0x800
	s_mov_b32 s5, 0
	s_mov_b32 s39, 0
.LBB6_19:                               ; =>This Inner Loop Header: Depth=1
	s_wait_alu 0xfffe
	v_mov_b32_e32 v10, s38
	s_add_co_i32 s39, s39, 8
	s_add_co_i32 s38, s38, 32
	s_wait_alu 0xfffe
	v_cmp_eq_u32_e32 vcc_lo, s39, v4
	ds_load_b128 v[6:9], v10
	ds_load_b128 v[10:13], v10 offset:16
	s_or_b32 s5, vcc_lo, s5
	s_wait_dscnt 0x1
	v_add_nc_u32_e32 v3, v6, v3
	s_delay_alu instid0(VALU_DEP_1) | instskip(NEXT) | instid1(VALU_DEP_1)
	v_add_nc_u32_e32 v3, v7, v3
	v_add_nc_u32_e32 v3, v8, v3
	s_delay_alu instid0(VALU_DEP_1) | instskip(SKIP_1) | instid1(VALU_DEP_1)
	v_add_nc_u32_e32 v3, v9, v3
	s_wait_dscnt 0x0
	v_add_nc_u32_e32 v3, v10, v3
	s_delay_alu instid0(VALU_DEP_1) | instskip(NEXT) | instid1(VALU_DEP_1)
	v_add_nc_u32_e32 v3, v11, v3
	v_add_nc_u32_e32 v3, v12, v3
	s_delay_alu instid0(VALU_DEP_1)
	v_add_nc_u32_e32 v3, v13, v3
	s_wait_alu 0xfffe
	s_and_not1_b32 exec_lo, exec_lo, s5
	s_cbranch_execnz .LBB6_19
; %bb.20:
	s_or_b32 exec_lo, exec_lo, s5
.LBB6_21:
	s_wait_alu 0xfffe
	s_or_b32 exec_lo, exec_lo, s4
	v_and_b32_e32 v6, 7, v0
	s_mov_b32 s5, 0
	s_mov_b32 s4, exec_lo
	s_delay_alu instid0(VALU_DEP_1)
	v_cmpx_ne_u32_e32 0, v6
	s_cbranch_execz .LBB6_25
; %bb.22:
	v_lshl_or_b32 v4, v4, 2, 0x800
.LBB6_23:                               ; =>This Inner Loop Header: Depth=1
	ds_load_b32 v7, v4
	v_add_nc_u32_e32 v6, -1, v6
	v_add_nc_u32_e32 v4, 4, v4
	s_delay_alu instid0(VALU_DEP_2)
	v_cmp_eq_u32_e32 vcc_lo, 0, v6
	s_wait_alu 0xfffe
	s_or_b32 s5, vcc_lo, s5
	s_wait_dscnt 0x0
	v_add_nc_u32_e32 v3, v7, v3
	s_wait_alu 0xfffe
	s_and_not1_b32 exec_lo, exec_lo, s5
	s_cbranch_execnz .LBB6_23
; %bb.24:
	s_or_b32 exec_lo, exec_lo, s5
.LBB6_25:
	s_wait_alu 0xfffe
	s_or_b32 exec_lo, exec_lo, s4
.LBB6_26:
	s_wait_alu 0xfffe
	s_or_b32 exec_lo, exec_lo, s3
	s_mul_u64 s[4:5], s[16:17], s[34:35]
	s_mov_b32 s17, 0
	s_mov_b32 s16, exec_lo
	v_cmpx_lt_i32_e32 0, v5
	s_cbranch_execz .LBB6_29
; %bb.27:
	v_ashrrev_i32_e32 v4, 31, v3
	s_wait_alu 0xfffe
	s_lshl_b64 s[38:39], s[4:5], 2
	s_wait_alu 0xfffe
	s_add_nc_u64 s[38:39], s[14:15], s[38:39]
	v_lshlrev_b64_e32 v[6:7], 2, v[3:4]
	v_mov_b32_e32 v4, v5
	s_wait_alu 0xfffe
	s_delay_alu instid0(VALU_DEP_2) | instskip(SKIP_1) | instid1(VALU_DEP_3)
	v_add_co_u32 v6, vcc_lo, s38, v6
	s_wait_alu 0xfffd
	v_add_co_ci_u32_e64 v7, null, s39, v7, vcc_lo
.LBB6_28:                               ; =>This Inner Loop Header: Depth=1
	global_load_b32 v8, v[1:2], off
	v_add_nc_u32_e32 v4, -1, v4
	v_add_co_u32 v1, vcc_lo, v1, 4
	s_wait_alu 0xfffd
	v_add_co_ci_u32_e64 v2, null, 0, v2, vcc_lo
	s_delay_alu instid0(VALU_DEP_3)
	v_cmp_eq_u32_e32 vcc_lo, 0, v4
	s_or_b32 s17, vcc_lo, s17
	s_wait_loadcnt 0x0
	v_add_nc_u32_e32 v8, 1, v8
	global_store_b32 v[6:7], v8, off
	v_add_co_u32 v6, s3, v6, 4
	s_wait_alu 0xf1ff
	v_add_co_ci_u32_e64 v7, null, 0, v7, s3
	s_and_not1_b32 exec_lo, exec_lo, s17
	s_cbranch_execnz .LBB6_28
.LBB6_29:
	s_or_b32 exec_lo, exec_lo, s16
	v_cmp_eq_u32_e64 s3, 0xff, v0
	s_and_saveexec_b32 s16, s3
	s_cbranch_execz .LBB6_31
; %bb.30:
	v_dual_mov_b32 v4, 0 :: v_dual_add_nc_u32 v1, v3, v5
	s_wait_alu 0xfffe
	s_lshl_b64 s[4:5], s[4:5], 2
	v_mov_b32_e32 v5, s7
	s_wait_alu 0xfffe
	s_add_nc_u64 s[4:5], s[14:15], s[4:5]
	v_ashrrev_i32_e32 v2, 31, v1
	s_delay_alu instid0(VALU_DEP_1) | instskip(SKIP_2) | instid1(VALU_DEP_2)
	v_lshlrev_b64_e32 v[2:3], 2, v[1:2]
	v_add_nc_u32_e32 v1, 1, v1
	s_wait_alu 0xfffe
	v_add_co_u32 v2, vcc_lo, s4, v2
	s_wait_alu 0xfffd
	s_delay_alu instid0(VALU_DEP_3)
	v_add_co_ci_u32_e64 v3, null, s5, v3, vcc_lo
	s_lshl_b64 s[4:5], s[34:35], 2
	s_wait_alu 0xfffe
	s_add_nc_u64 s[4:5], s[8:9], s[4:5]
	global_store_b32 v[2:3], v5, off
	global_store_b32 v4, v1, s[4:5]
.LBB6_31:
	s_or_b32 exec_lo, exec_lo, s16
	v_mov_b32_e32 v1, 0
	v_dual_mov_b32 v2, 0 :: v_dual_lshlrev_b32 v5, 3, v0
	v_bfrev_b32_e32 v6, -2
	s_mov_b32 s5, exec_lo
	s_wait_loadcnt 0x0
	s_wait_storecnt 0x0
	s_barrier_signal -1
	s_barrier_wait -1
	global_inv scope:SCOPE_SE
	v_cmpx_gt_i32_e64 s33, v0
	s_cbranch_execz .LBB6_35
; %bb.32:
	s_lshl_b64 s[8:9], s[42:43], 3
	v_mov_b32_e32 v1, 0
	s_wait_alu 0xfffe
	s_add_nc_u64 s[8:9], s[22:23], s[8:9]
	v_dual_mov_b32 v2, 0 :: v_dual_mov_b32 v7, v0
	s_wait_alu 0xfffe
	v_add_co_u32 v3, s4, s8, v5
	s_wait_alu 0xf1ff
	v_add_co_ci_u32_e64 v4, null, s9, 0, s4
	v_bfrev_b32_e32 v6, -2
	s_mov_b32 s8, 0
.LBB6_33:                               ; =>This Inner Loop Header: Depth=1
	global_load_b64 v[8:9], v[3:4], off
	v_cmp_eq_u32_e32 vcc_lo, 0x7fffffff, v6
	v_add_co_u32 v3, s4, 0x800, v3
	s_wait_alu 0xf1ff
	v_add_co_ci_u32_e64 v4, null, 0, v4, s4
	s_wait_loadcnt 0x0
	v_cmp_lt_f64_e64 s9, v[1:2], |v[8:9]|
	s_or_b32 vcc_lo, s9, vcc_lo
	s_wait_alu 0xfffe
	v_dual_cndmask_b32 v1, v1, v8 :: v_dual_add_nc_u32 v10, 1, v7
	s_delay_alu instid0(VALU_DEP_1) | instskip(NEXT) | instid1(VALU_DEP_1)
	v_dual_cndmask_b32 v6, v6, v10 :: v_dual_and_b32 v9, 0x7fffffff, v9
	v_dual_cndmask_b32 v2, v2, v9 :: v_dual_add_nc_u32 v7, 0x100, v7
	s_delay_alu instid0(VALU_DEP_1)
	v_cmp_le_i32_e64 s4, s33, v7
	s_or_b32 s8, s4, s8
	s_wait_alu 0xfffe
	s_and_not1_b32 exec_lo, exec_lo, s8
	s_cbranch_execnz .LBB6_33
; %bb.34:
	s_or_b32 exec_lo, exec_lo, s8
.LBB6_35:
	s_wait_alu 0xfffe
	s_or_b32 exec_lo, exec_lo, s5
	s_cmp_lt_i32 s7, 3
	ds_store_b64 v5, v[1:2]
	ds_store_b32 v19, v6
	s_wait_loadcnt_dscnt 0x0
	s_barrier_signal -1
	s_barrier_wait -1
	global_inv scope:SCOPE_SE
	s_cbranch_scc1 .LBB6_72
; %bb.36:
	s_mov_b32 s5, exec_lo
	v_cmpx_gt_u32_e32 0x80, v0
	s_cbranch_execz .LBB6_42
; %bb.37:
	ds_load_b64 v[3:4], v5 offset:1024
	ds_load_b32 v7, v19 offset:512
	s_mov_b32 s9, exec_lo
	s_wait_dscnt 0x1
	v_cmp_lt_f64_e64 s8, v[1:2], v[3:4]
	v_cmpx_nlt_f64_e32 v[1:2], v[3:4]
	s_cbranch_execz .LBB6_39
; %bb.38:
	v_cmp_eq_f64_e32 vcc_lo, v[1:2], v[3:4]
	s_wait_dscnt 0x0
	v_cmp_gt_i32_e64 s4, v6, v7
	s_and_not1_b32 s8, s8, exec_lo
	s_and_b32 s4, vcc_lo, s4
	s_wait_alu 0xfffe
	s_and_b32 s4, s4, exec_lo
	s_wait_alu 0xfffe
	s_or_b32 s8, s8, s4
.LBB6_39:
	s_wait_alu 0xfffe
	s_or_b32 exec_lo, exec_lo, s9
	s_and_saveexec_b32 s4, s8
	s_cbranch_execz .LBB6_41
; %bb.40:
	s_wait_dscnt 0x0
	v_dual_mov_b32 v6, v7 :: v_dual_mov_b32 v1, v3
	v_mov_b32_e32 v2, v4
	ds_store_b64 v5, v[3:4]
	ds_store_b32 v19, v7
.LBB6_41:
	s_wait_alu 0xfffe
	s_or_b32 exec_lo, exec_lo, s4
.LBB6_42:
	s_wait_alu 0xfffe
	s_or_b32 exec_lo, exec_lo, s5
	s_delay_alu instid0(SALU_CYCLE_1)
	s_mov_b32 s5, exec_lo
	s_wait_loadcnt_dscnt 0x0
	s_barrier_signal -1
	s_barrier_wait -1
	global_inv scope:SCOPE_SE
	v_cmpx_gt_u32_e32 64, v0
	s_cbranch_execz .LBB6_48
; %bb.43:
	ds_load_b64 v[3:4], v5 offset:512
	ds_load_b32 v7, v19 offset:256
	s_mov_b32 s9, exec_lo
	s_wait_dscnt 0x1
	v_cmp_lt_f64_e64 s8, v[1:2], v[3:4]
	v_cmpx_nlt_f64_e32 v[1:2], v[3:4]
	s_cbranch_execz .LBB6_45
; %bb.44:
	v_cmp_eq_f64_e32 vcc_lo, v[1:2], v[3:4]
	s_wait_dscnt 0x0
	v_cmp_gt_i32_e64 s4, v6, v7
	s_and_not1_b32 s8, s8, exec_lo
	s_and_b32 s4, vcc_lo, s4
	s_wait_alu 0xfffe
	s_and_b32 s4, s4, exec_lo
	s_wait_alu 0xfffe
	s_or_b32 s8, s8, s4
.LBB6_45:
	s_wait_alu 0xfffe
	s_or_b32 exec_lo, exec_lo, s9
	s_and_saveexec_b32 s4, s8
	s_cbranch_execz .LBB6_47
; %bb.46:
	s_wait_dscnt 0x0
	v_dual_mov_b32 v6, v7 :: v_dual_mov_b32 v1, v3
	v_mov_b32_e32 v2, v4
	ds_store_b64 v5, v[3:4]
	ds_store_b32 v19, v7
.LBB6_47:
	s_wait_alu 0xfffe
	s_or_b32 exec_lo, exec_lo, s4
.LBB6_48:
	s_wait_alu 0xfffe
	s_or_b32 exec_lo, exec_lo, s5
	s_delay_alu instid0(SALU_CYCLE_1)
	s_mov_b32 s8, exec_lo
	s_wait_loadcnt_dscnt 0x0
	s_barrier_signal -1
	s_barrier_wait -1
	global_inv scope:SCOPE_SE
	v_cmpx_gt_u32_e32 32, v0
	s_cbranch_execz .LBB6_71
; %bb.49:
	ds_load_b64 v[3:4], v5 offset:256
	ds_load_b32 v7, v19 offset:128
	s_mov_b32 s9, exec_lo
	s_wait_dscnt 0x1
	v_cmp_lt_f64_e64 s5, v[1:2], v[3:4]
	v_cmpx_nlt_f64_e32 v[1:2], v[3:4]
	s_cbranch_execz .LBB6_51
; %bb.50:
	v_cmp_eq_f64_e32 vcc_lo, v[1:2], v[3:4]
	s_wait_dscnt 0x0
	v_cmp_gt_i32_e64 s4, v6, v7
	s_and_not1_b32 s5, s5, exec_lo
	s_and_b32 s4, vcc_lo, s4
	s_wait_alu 0xfffe
	s_and_b32 s4, s4, exec_lo
	s_wait_alu 0xfffe
	s_or_b32 s5, s5, s4
.LBB6_51:
	s_wait_alu 0xfffe
	s_or_b32 exec_lo, exec_lo, s9
	s_and_saveexec_b32 s4, s5
	s_cbranch_execz .LBB6_53
; %bb.52:
	v_dual_mov_b32 v1, v3 :: v_dual_mov_b32 v2, v4
	s_wait_dscnt 0x0
	v_mov_b32_e32 v6, v7
	ds_store_b64 v5, v[3:4]
	ds_store_b32 v19, v7
.LBB6_53:
	s_wait_alu 0xfffe
	s_or_b32 exec_lo, exec_lo, s4
	ds_load_b64 v[3:4], v5 offset:128
	s_wait_dscnt 0x1
	ds_load_b32 v7, v19 offset:64
	s_mov_b32 s9, exec_lo
	s_wait_dscnt 0x1
	v_cmp_lt_f64_e64 s5, v[1:2], v[3:4]
	v_cmpx_nlt_f64_e32 v[1:2], v[3:4]
	s_cbranch_execz .LBB6_55
; %bb.54:
	v_cmp_eq_f64_e32 vcc_lo, v[1:2], v[3:4]
	s_wait_dscnt 0x0
	v_cmp_gt_i32_e64 s4, v6, v7
	s_and_not1_b32 s5, s5, exec_lo
	s_and_b32 s4, vcc_lo, s4
	s_wait_alu 0xfffe
	s_and_b32 s4, s4, exec_lo
	s_wait_alu 0xfffe
	s_or_b32 s5, s5, s4
.LBB6_55:
	s_wait_alu 0xfffe
	s_or_b32 exec_lo, exec_lo, s9
	s_and_saveexec_b32 s4, s5
	s_cbranch_execz .LBB6_57
; %bb.56:
	v_dual_mov_b32 v1, v3 :: v_dual_mov_b32 v2, v4
	s_wait_dscnt 0x0
	v_mov_b32_e32 v6, v7
	ds_store_b64 v5, v[3:4]
	ds_store_b32 v19, v7
.LBB6_57:
	s_wait_alu 0xfffe
	s_or_b32 exec_lo, exec_lo, s4
	ds_load_b64 v[3:4], v5 offset:64
	s_wait_dscnt 0x1
	;; [unrolled: 32-line block ×5, first 2 shown]
	ds_load_b32 v7, v19 offset:4
	s_wait_dscnt 0x1
	v_cmp_eq_f64_e32 vcc_lo, v[1:2], v[3:4]
	v_cmp_lt_f64_e64 s4, v[1:2], v[3:4]
	s_wait_dscnt 0x0
	v_cmp_gt_i32_e64 s5, v6, v7
	s_and_b32 s5, vcc_lo, s5
	s_wait_alu 0xfffe
	s_or_b32 s4, s4, s5
	s_wait_alu 0xfffe
	s_and_b32 exec_lo, exec_lo, s4
	s_cbranch_execz .LBB6_71
; %bb.70:
	ds_store_b64 v5, v[3:4]
	ds_store_b32 v19, v7
.LBB6_71:
	s_wait_alu 0xfffe
	s_or_b32 exec_lo, exec_lo, s8
.LBB6_72:
	s_load_b128 s[48:51], s[0:1], 0x8
	v_mov_b32_e32 v1, 0
	s_wait_loadcnt_dscnt 0x0
	s_barrier_signal -1
	s_barrier_wait -1
	global_inv scope:SCOPE_SE
	s_wait_kmcnt 0x0
	v_dual_mov_b32 v3, s50 :: v_dual_mov_b32 v4, s51
	ds_load_b64 v[1:2], v1
	s_wait_dscnt 0x0
	v_mul_f64_e32 v[1:2], s[40:41], v[1:2]
	s_delay_alu instid0(VALU_DEP_1)
	v_cmp_gt_f64_e32 vcc_lo, s[40:41], v[1:2]
	v_readfirstlane_b32 s4, v2
	v_readfirstlane_b32 s5, v1
	v_dual_mov_b32 v1, s48 :: v_dual_mov_b32 v2, s49
	s_and_b32 s8, vcc_lo, exec_lo
	s_cselect_b32 s9, s41, s4
	s_cselect_b32 s8, s40, s5
	s_cmp_lg_u32 s6, 0xe9
	s_mov_b32 s4, -1
	s_cbranch_scc1 .LBB6_121
; %bb.73:
	s_lshl_b64 s[18:19], s[18:19], 3
	s_lshl_b64 s[38:39], s[44:45], 3
	s_add_nc_u64 s[4:5], s[36:37], s[18:19]
	s_lshl_b32 s14, s7, 1
	s_wait_alu 0xfffe
	s_add_nc_u64 s[40:41], s[4:5], s[38:39]
	s_mul_i32 s4, s14, ttmp7
	s_lshl_b64 s[16:17], s[42:43], 3
	s_lshl_b64 s[12:13], s[12:13], 3
	s_wait_alu 0xfffe
	s_ashr_i32 s5, s4, 31
	s_add_nc_u64 s[16:17], s[22:23], s[16:17]
	s_add_nc_u64 s[22:23], s[10:11], s[12:13]
	s_wait_alu 0xfffe
	s_lshl_b64 s[10:11], s[4:5], 3
	s_lshl_b64 s[4:5], s[4:5], 2
	s_wait_alu 0xfffe
	s_add_nc_u64 s[10:11], s[26:27], s[10:11]
	s_add_nc_u64 s[12:13], s[28:29], s[4:5]
	s_and_saveexec_b32 s15, s2
	s_cbranch_execz .LBB6_81
; %bb.74:
	v_mov_b32_e32 v10, 0
	s_cmp_gt_i32 s7, 1
	s_clause 0x1
	global_load_b64 v[6:7], v10, s[40:41]
	global_load_b64 v[3:4], v10, s[22:23]
	s_cselect_b32 s42, -1, 0
	s_cmp_lt_i32 s7, 2
	s_wait_loadcnt 0x0
	v_add_f64_e64 v[1:2], v[6:7], -|v[3:4]|
	v_and_b32_e32 v4, 0x7fffffff, v4
	s_delay_alu instid0(VALU_DEP_2) | instskip(NEXT) | instid1(VALU_DEP_1)
	v_add_f64_e64 v[8:9], v[6:7], -v[1:2]
	v_cmp_ge_f64_e32 vcc_lo, s[8:9], v[8:9]
	s_wait_alu 0xfffd
	v_cndmask_b32_e64 v5, 0, 1, vcc_lo
	s_cbranch_scc1 .LBB6_77
; %bb.75:
	v_cmp_gt_f64_e64 s26, v[8:9], -s[8:9]
	s_xor_b32 s43, s9, 0x80000000
	s_add_nc_u64 s[4:5], s[18:19], s[38:39]
	s_mov_b32 s44, s33
	s_wait_alu 0xfffe
	s_add_nc_u64 s[4:5], s[36:37], s[4:5]
	s_wait_alu 0xfffe
	s_add_nc_u64 s[4:5], s[4:5], 8
	s_and_b32 s26, vcc_lo, s26
	s_delay_alu instid0(SALU_CYCLE_1)
	v_cndmask_b32_e64 v9, v9, s43, s26
	v_cndmask_b32_e64 v8, v8, s8, s26
	s_mov_b64 s[26:27], s[16:17]
.LBB6_76:                               ; =>This Inner Loop Header: Depth=1
	s_clause 0x1
	global_load_b64 v[11:12], v10, s[26:27]
	global_load_b64 v[13:14], v10, s[4:5]
	s_add_co_i32 s44, s44, -1
	s_wait_alu 0xfffe
	s_add_nc_u64 s[4:5], s[4:5], 8
	s_add_nc_u64 s[26:27], s[26:27], 8
	s_wait_loadcnt 0x1
	v_div_scale_f64 v[15:16], null, v[8:9], v[8:9], v[11:12]
	v_div_scale_f64 v[21:22], vcc_lo, v[11:12], v[8:9], v[11:12]
	s_wait_loadcnt 0x0
	v_add_f64_e64 v[13:14], v[13:14], -v[1:2]
	s_delay_alu instid0(VALU_DEP_3) | instskip(NEXT) | instid1(TRANS32_DEP_1)
	v_rcp_f64_e32 v[17:18], v[15:16]
	v_fma_f64 v[19:20], -v[15:16], v[17:18], 1.0
	s_delay_alu instid0(VALU_DEP_1) | instskip(NEXT) | instid1(VALU_DEP_1)
	v_fma_f64 v[17:18], v[17:18], v[19:20], v[17:18]
	v_fma_f64 v[19:20], -v[15:16], v[17:18], 1.0
	s_delay_alu instid0(VALU_DEP_1) | instskip(NEXT) | instid1(VALU_DEP_1)
	v_fma_f64 v[17:18], v[17:18], v[19:20], v[17:18]
	v_mul_f64_e32 v[19:20], v[21:22], v[17:18]
	s_delay_alu instid0(VALU_DEP_1) | instskip(SKIP_1) | instid1(VALU_DEP_1)
	v_fma_f64 v[15:16], -v[15:16], v[19:20], v[21:22]
	s_wait_alu 0xfffd
	v_div_fmas_f64 v[15:16], v[15:16], v[17:18], v[19:20]
	s_delay_alu instid0(VALU_DEP_1) | instskip(NEXT) | instid1(VALU_DEP_1)
	v_div_fixup_f64 v[8:9], v[15:16], v[8:9], v[11:12]
	v_add_f64_e64 v[8:9], v[13:14], -v[8:9]
	s_delay_alu instid0(VALU_DEP_1)
	v_cmp_ge_f64_e32 vcc_lo, s[8:9], v[8:9]
	v_cmp_gt_f64_e64 s45, v[8:9], -s[8:9]
	s_wait_alu 0xfffd
	v_add_co_ci_u32_e64 v5, null, 0, v5, vcc_lo
	s_and_b32 s45, vcc_lo, s45
	s_cmp_lg_u32 s44, 0
	s_wait_alu 0xfffe
	v_cndmask_b32_e64 v9, v9, s43, s45
	v_cndmask_b32_e64 v8, v8, s8, s45
	s_cbranch_scc1 .LBB6_76
.LBB6_77:
	v_add_f64_e32 v[3:4], v[6:7], v[3:4]
	s_and_not1_b32 vcc_lo, exec_lo, s42
	s_delay_alu instid0(VALU_DEP_1) | instskip(NEXT) | instid1(VALU_DEP_1)
	v_add_f64_e64 v[7:8], v[6:7], -v[3:4]
	v_cmp_ge_f64_e64 s4, s[8:9], v[7:8]
	s_wait_alu 0xf1fe
	s_delay_alu instid0(VALU_DEP_1)
	v_cndmask_b32_e64 v6, 0, 1, s4
	s_cbranch_vccnz .LBB6_80
; %bb.78:
	v_cmp_gt_f64_e64 s5, v[7:8], -s[8:9]
	s_xor_b32 s42, s9, 0x80000000
	s_add_nc_u64 s[26:27], s[18:19], s[38:39]
	v_mov_b32_e32 v9, 0
	s_wait_alu 0xfffe
	s_add_nc_u64 s[26:27], s[36:37], s[26:27]
	s_mov_b32 s43, s33
	s_and_b32 s4, s4, s5
	s_wait_alu 0xfffe
	v_cndmask_b32_e64 v8, v8, s42, s4
	v_cndmask_b32_e64 v7, v7, s8, s4
	s_add_nc_u64 s[4:5], s[26:27], 8
	s_mov_b64 s[26:27], s[16:17]
.LBB6_79:                               ; =>This Inner Loop Header: Depth=1
	s_clause 0x1
	global_load_b64 v[10:11], v9, s[26:27]
	global_load_b64 v[12:13], v9, s[4:5]
	s_add_co_i32 s43, s43, -1
	s_wait_alu 0xfffe
	s_add_nc_u64 s[4:5], s[4:5], 8
	s_add_nc_u64 s[26:27], s[26:27], 8
	s_wait_loadcnt 0x1
	v_div_scale_f64 v[14:15], null, v[7:8], v[7:8], v[10:11]
	v_div_scale_f64 v[20:21], vcc_lo, v[10:11], v[7:8], v[10:11]
	s_wait_loadcnt 0x0
	v_add_f64_e64 v[12:13], v[12:13], -v[3:4]
	s_delay_alu instid0(VALU_DEP_3) | instskip(NEXT) | instid1(TRANS32_DEP_1)
	v_rcp_f64_e32 v[16:17], v[14:15]
	v_fma_f64 v[18:19], -v[14:15], v[16:17], 1.0
	s_delay_alu instid0(VALU_DEP_1) | instskip(NEXT) | instid1(VALU_DEP_1)
	v_fma_f64 v[16:17], v[16:17], v[18:19], v[16:17]
	v_fma_f64 v[18:19], -v[14:15], v[16:17], 1.0
	s_delay_alu instid0(VALU_DEP_1) | instskip(NEXT) | instid1(VALU_DEP_1)
	v_fma_f64 v[16:17], v[16:17], v[18:19], v[16:17]
	v_mul_f64_e32 v[18:19], v[20:21], v[16:17]
	s_delay_alu instid0(VALU_DEP_1) | instskip(SKIP_1) | instid1(VALU_DEP_1)
	v_fma_f64 v[14:15], -v[14:15], v[18:19], v[20:21]
	s_wait_alu 0xfffd
	v_div_fmas_f64 v[14:15], v[14:15], v[16:17], v[18:19]
	s_delay_alu instid0(VALU_DEP_1) | instskip(NEXT) | instid1(VALU_DEP_1)
	v_div_fixup_f64 v[7:8], v[14:15], v[7:8], v[10:11]
	v_add_f64_e64 v[7:8], v[12:13], -v[7:8]
	s_delay_alu instid0(VALU_DEP_1)
	v_cmp_ge_f64_e32 vcc_lo, s[8:9], v[7:8]
	v_cmp_gt_f64_e64 s44, v[7:8], -s[8:9]
	s_wait_alu 0xfffd
	v_add_co_ci_u32_e64 v6, null, 0, v6, vcc_lo
	s_and_b32 s44, vcc_lo, s44
	s_cmp_lg_u32 s43, 0
	s_wait_alu 0xfffe
	v_cndmask_b32_e64 v8, v8, s42, s44
	v_cndmask_b32_e64 v7, v7, s8, s44
	s_cbranch_scc1 .LBB6_79
.LBB6_80:
	v_mov_b32_e32 v7, 0
	s_clause 0x1
	global_store_b128 v7, v[1:4], s[10:11]
	global_store_b64 v7, v[5:6], s[12:13]
.LBB6_81:
	s_or_b32 exec_lo, exec_lo, s15
	v_add_nc_u32_e32 v4, 1, v0
	s_mov_b32 s15, exec_lo
	s_delay_alu instid0(VALU_DEP_1)
	v_cmpx_gt_i32_e64 s33, v4
	s_cbranch_execz .LBB6_88
; %bb.82:
	s_add_nc_u64 s[4:5], s[18:19], s[38:39]
	v_mov_b32_e32 v5, 0
	s_wait_alu 0xfffe
	s_add_nc_u64 s[4:5], s[36:37], s[4:5]
	s_mov_b32 s44, 0
	s_wait_alu 0xfffe
	s_add_nc_u64 s[26:27], s[4:5], 8
	s_xor_b32 s45, s9, 0x80000000
.LBB6_83:                               ; =>This Loop Header: Depth=1
                                        ;     Child Loop BB6_84 Depth 2
                                        ;     Child Loop BB6_86 Depth 2
	v_lshlrev_b64_e32 v[0:1], 3, v[4:5]
	s_mov_b32 s46, 1
	s_wait_alu 0xfffe
	s_mov_b64 s[42:43], s[26:27]
	s_delay_alu instid0(VALU_DEP_1)
	v_add_co_u32 v2, vcc_lo, s22, v0
	s_wait_alu 0xfffd
	v_add_co_ci_u32_e64 v3, null, s23, v1, vcc_lo
	v_add_co_u32 v0, vcc_lo, s40, v0
	s_wait_alu 0xfffd
	v_add_co_ci_u32_e64 v1, null, s41, v1, vcc_lo
	global_load_b128 v[9:12], v[2:3], off offset:-8
	s_clause 0x1
	global_load_b64 v[2:3], v[0:1], off
	global_load_b64 v[7:8], v5, s[40:41]
	s_wait_loadcnt 0x2
	v_add_f64_e64 v[9:10], |v[11:12]|, |v[9:10]|
	s_wait_loadcnt 0x1
	s_delay_alu instid0(VALU_DEP_1) | instskip(SKIP_1) | instid1(VALU_DEP_1)
	v_add_f64_e64 v[0:1], v[2:3], -v[9:10]
	s_wait_loadcnt 0x0
	v_add_f64_e64 v[11:12], v[7:8], -v[0:1]
	s_delay_alu instid0(VALU_DEP_1)
	v_cmp_gt_f64_e64 s4, v[11:12], -s[8:9]
	v_cmp_ge_f64_e32 vcc_lo, s[8:9], v[11:12]
	s_and_b32 s4, vcc_lo, s4
	v_cndmask_b32_e64 v6, 0, 1, vcc_lo
	s_wait_alu 0xfffe
	v_cndmask_b32_e64 v12, v12, s45, s4
	v_cndmask_b32_e64 v11, v11, s8, s4
	s_mov_b64 s[4:5], s[16:17]
.LBB6_84:                               ;   Parent Loop BB6_83 Depth=1
                                        ; =>  This Inner Loop Header: Depth=2
	s_clause 0x1
	global_load_b64 v[13:14], v5, s[4:5]
	global_load_b64 v[15:16], v5, s[42:43]
	s_add_co_i32 s46, s46, 1
	s_add_nc_u64 s[42:43], s[42:43], 8
	s_wait_alu 0xfffe
	s_add_nc_u64 s[4:5], s[4:5], 8
	s_wait_loadcnt 0x1
	v_div_scale_f64 v[17:18], null, v[11:12], v[11:12], v[13:14]
	v_div_scale_f64 v[23:24], vcc_lo, v[13:14], v[11:12], v[13:14]
	s_wait_loadcnt 0x0
	v_add_f64_e64 v[15:16], v[15:16], -v[0:1]
	s_delay_alu instid0(VALU_DEP_3) | instskip(NEXT) | instid1(TRANS32_DEP_1)
	v_rcp_f64_e32 v[19:20], v[17:18]
	v_fma_f64 v[21:22], -v[17:18], v[19:20], 1.0
	s_delay_alu instid0(VALU_DEP_1) | instskip(NEXT) | instid1(VALU_DEP_1)
	v_fma_f64 v[19:20], v[19:20], v[21:22], v[19:20]
	v_fma_f64 v[21:22], -v[17:18], v[19:20], 1.0
	s_delay_alu instid0(VALU_DEP_1) | instskip(NEXT) | instid1(VALU_DEP_1)
	v_fma_f64 v[19:20], v[19:20], v[21:22], v[19:20]
	v_mul_f64_e32 v[21:22], v[23:24], v[19:20]
	s_delay_alu instid0(VALU_DEP_1) | instskip(SKIP_1) | instid1(VALU_DEP_1)
	v_fma_f64 v[17:18], -v[17:18], v[21:22], v[23:24]
	s_wait_alu 0xfffd
	v_div_fmas_f64 v[17:18], v[17:18], v[19:20], v[21:22]
	s_delay_alu instid0(VALU_DEP_1) | instskip(NEXT) | instid1(VALU_DEP_1)
	v_div_fixup_f64 v[11:12], v[17:18], v[11:12], v[13:14]
	v_add_f64_e64 v[11:12], v[15:16], -v[11:12]
	s_delay_alu instid0(VALU_DEP_1)
	v_cmp_ge_f64_e32 vcc_lo, s[8:9], v[11:12]
	v_cmp_gt_f64_e64 s47, v[11:12], -s[8:9]
	s_wait_alu 0xfffd
	v_add_co_ci_u32_e64 v6, null, 0, v6, vcc_lo
	s_and_b32 s47, vcc_lo, s47
	s_cmp_lg_u32 s7, s46
	s_wait_alu 0xfffe
	v_cndmask_b32_e64 v12, v12, s45, s47
	v_cndmask_b32_e64 v11, v11, s8, s47
	s_cbranch_scc1 .LBB6_84
; %bb.85:                               ;   in Loop: Header=BB6_83 Depth=1
	v_add_f64_e32 v[2:3], v[2:3], v[9:10]
	s_mov_b64 s[42:43], s[26:27]
	s_mov_b32 s46, s33
	s_delay_alu instid0(VALU_DEP_1) | instskip(NEXT) | instid1(VALU_DEP_1)
	v_add_f64_e64 v[8:9], v[7:8], -v[2:3]
	v_cmp_gt_f64_e64 s4, v[8:9], -s[8:9]
	v_cmp_ge_f64_e32 vcc_lo, s[8:9], v[8:9]
	s_and_b32 s4, vcc_lo, s4
	v_cndmask_b32_e64 v7, 0, 1, vcc_lo
	s_wait_alu 0xfffe
	v_cndmask_b32_e64 v9, v9, s45, s4
	v_cndmask_b32_e64 v8, v8, s8, s4
	s_mov_b64 s[4:5], s[16:17]
.LBB6_86:                               ;   Parent Loop BB6_83 Depth=1
                                        ; =>  This Inner Loop Header: Depth=2
	s_clause 0x1
	global_load_b64 v[10:11], v5, s[4:5]
	global_load_b64 v[12:13], v5, s[42:43]
	s_add_co_i32 s46, s46, -1
	s_add_nc_u64 s[42:43], s[42:43], 8
	s_wait_alu 0xfffe
	s_add_nc_u64 s[4:5], s[4:5], 8
	s_wait_loadcnt 0x1
	v_div_scale_f64 v[14:15], null, v[8:9], v[8:9], v[10:11]
	v_div_scale_f64 v[20:21], vcc_lo, v[10:11], v[8:9], v[10:11]
	s_wait_loadcnt 0x0
	v_add_f64_e64 v[12:13], v[12:13], -v[2:3]
	s_delay_alu instid0(VALU_DEP_3) | instskip(NEXT) | instid1(TRANS32_DEP_1)
	v_rcp_f64_e32 v[16:17], v[14:15]
	v_fma_f64 v[18:19], -v[14:15], v[16:17], 1.0
	s_delay_alu instid0(VALU_DEP_1) | instskip(NEXT) | instid1(VALU_DEP_1)
	v_fma_f64 v[16:17], v[16:17], v[18:19], v[16:17]
	v_fma_f64 v[18:19], -v[14:15], v[16:17], 1.0
	s_delay_alu instid0(VALU_DEP_1) | instskip(NEXT) | instid1(VALU_DEP_1)
	v_fma_f64 v[16:17], v[16:17], v[18:19], v[16:17]
	v_mul_f64_e32 v[18:19], v[20:21], v[16:17]
	s_delay_alu instid0(VALU_DEP_1) | instskip(SKIP_1) | instid1(VALU_DEP_1)
	v_fma_f64 v[14:15], -v[14:15], v[18:19], v[20:21]
	s_wait_alu 0xfffd
	v_div_fmas_f64 v[14:15], v[14:15], v[16:17], v[18:19]
	s_delay_alu instid0(VALU_DEP_1) | instskip(NEXT) | instid1(VALU_DEP_1)
	v_div_fixup_f64 v[8:9], v[14:15], v[8:9], v[10:11]
	v_add_f64_e64 v[8:9], v[12:13], -v[8:9]
	s_delay_alu instid0(VALU_DEP_1)
	v_cmp_ge_f64_e32 vcc_lo, s[8:9], v[8:9]
	v_cmp_gt_f64_e64 s47, v[8:9], -s[8:9]
	s_wait_alu 0xfffd
	v_add_co_ci_u32_e64 v7, null, 0, v7, vcc_lo
	s_and_b32 s47, vcc_lo, s47
	s_cmp_lg_u32 s46, 0
	s_wait_alu 0xfffe
	v_cndmask_b32_e64 v9, v9, s45, s47
	v_cndmask_b32_e64 v8, v8, s8, s47
	s_cbranch_scc1 .LBB6_86
; %bb.87:                               ;   in Loop: Header=BB6_83 Depth=1
	v_dual_mov_b32 v9, v5 :: v_dual_lshlrev_b32 v8, 1, v4
	v_add_nc_u32_e32 v4, 0x100, v4
	s_delay_alu instid0(VALU_DEP_2) | instskip(SKIP_1) | instid1(VALU_DEP_3)
	v_lshlrev_b64_e32 v[10:11], 3, v[8:9]
	v_lshlrev_b64_e32 v[8:9], 2, v[8:9]
	v_cmp_le_i32_e32 vcc_lo, s33, v4
	s_delay_alu instid0(VALU_DEP_3) | instskip(SKIP_1) | instid1(VALU_DEP_4)
	v_add_co_u32 v10, s4, s10, v10
	s_wait_alu 0xf1ff
	v_add_co_ci_u32_e64 v11, null, s11, v11, s4
	s_delay_alu instid0(VALU_DEP_4)
	v_add_co_u32 v8, s4, s12, v8
	s_wait_alu 0xf1ff
	v_add_co_ci_u32_e64 v9, null, s13, v9, s4
	s_or_b32 s44, vcc_lo, s44
	global_store_b128 v[10:11], v[0:3], off
	global_store_b64 v[8:9], v[6:7], off
	s_wait_alu 0xfffe
	s_and_not1_b32 exec_lo, exec_lo, s44
	s_cbranch_execnz .LBB6_83
.LBB6_88:
	s_or_b32 exec_lo, exec_lo, s15
	s_and_saveexec_b32 s26, s3
	s_cbranch_execz .LBB6_96
; %bb.89:
	s_ashr_i32 s5, s7, 31
	s_mov_b32 s4, s7
	v_mov_b32_e32 v11, 0
	s_wait_alu 0xfffe
	s_lshl_b64 s[4:5], s[4:5], 3
	s_cmp_gt_i32 s7, 1
	s_wait_alu 0xfffe
	s_add_nc_u64 s[42:43], s[40:41], s[4:5]
	s_add_nc_u64 s[4:5], s[22:23], s[4:5]
	s_clause 0x2
	global_load_b64 v[2:3], v11, s[42:43] offset:-8
	global_load_b64 v[5:6], v11, s[4:5] offset:-16
	global_load_b64 v[7:8], v11, s[40:41]
	s_cselect_b32 s15, -1, 0
	s_cmp_lt_i32 s7, 2
	s_wait_loadcnt 0x1
	v_add_f64_e64 v[0:1], v[2:3], -|v[5:6]|
	v_and_b32_e32 v6, 0x7fffffff, v6
	s_wait_loadcnt 0x0
	s_delay_alu instid0(VALU_DEP_2) | instskip(NEXT) | instid1(VALU_DEP_1)
	v_add_f64_e64 v[9:10], v[7:8], -v[0:1]
	v_cmp_ge_f64_e32 vcc_lo, s[8:9], v[9:10]
	s_wait_alu 0xfffd
	v_cndmask_b32_e64 v4, 0, 1, vcc_lo
	s_cbranch_scc1 .LBB6_92
; %bb.90:
	v_cmp_gt_f64_e64 s22, v[9:10], -s[8:9]
	s_xor_b32 s3, s9, 0x80000000
	s_add_nc_u64 s[4:5], s[18:19], s[38:39]
	s_mov_b32 s27, s33
	s_wait_alu 0xfffe
	s_add_nc_u64 s[4:5], s[36:37], s[4:5]
	s_wait_alu 0xfffe
	s_add_nc_u64 s[4:5], s[4:5], 8
	s_and_b32 s22, vcc_lo, s22
	s_wait_alu 0xfffe
	v_cndmask_b32_e64 v10, v10, s3, s22
	v_cndmask_b32_e64 v9, v9, s8, s22
	s_mov_b64 s[22:23], s[16:17]
.LBB6_91:                               ; =>This Inner Loop Header: Depth=1
	s_clause 0x1
	global_load_b64 v[12:13], v11, s[22:23]
	global_load_b64 v[14:15], v11, s[4:5]
	s_add_co_i32 s27, s27, -1
	s_add_nc_u64 s[4:5], s[4:5], 8
	s_wait_alu 0xfffe
	s_add_nc_u64 s[22:23], s[22:23], 8
	s_wait_loadcnt 0x1
	v_div_scale_f64 v[16:17], null, v[9:10], v[9:10], v[12:13]
	v_div_scale_f64 v[22:23], vcc_lo, v[12:13], v[9:10], v[12:13]
	s_wait_loadcnt 0x0
	v_add_f64_e64 v[14:15], v[14:15], -v[0:1]
	s_delay_alu instid0(VALU_DEP_3) | instskip(NEXT) | instid1(TRANS32_DEP_1)
	v_rcp_f64_e32 v[18:19], v[16:17]
	v_fma_f64 v[20:21], -v[16:17], v[18:19], 1.0
	s_delay_alu instid0(VALU_DEP_1) | instskip(NEXT) | instid1(VALU_DEP_1)
	v_fma_f64 v[18:19], v[18:19], v[20:21], v[18:19]
	v_fma_f64 v[20:21], -v[16:17], v[18:19], 1.0
	s_delay_alu instid0(VALU_DEP_1) | instskip(NEXT) | instid1(VALU_DEP_1)
	v_fma_f64 v[18:19], v[18:19], v[20:21], v[18:19]
	v_mul_f64_e32 v[20:21], v[22:23], v[18:19]
	s_delay_alu instid0(VALU_DEP_1) | instskip(SKIP_1) | instid1(VALU_DEP_1)
	v_fma_f64 v[16:17], -v[16:17], v[20:21], v[22:23]
	s_wait_alu 0xfffd
	v_div_fmas_f64 v[16:17], v[16:17], v[18:19], v[20:21]
	s_delay_alu instid0(VALU_DEP_1) | instskip(NEXT) | instid1(VALU_DEP_1)
	v_div_fixup_f64 v[9:10], v[16:17], v[9:10], v[12:13]
	v_add_f64_e64 v[9:10], v[14:15], -v[9:10]
	s_delay_alu instid0(VALU_DEP_1)
	v_cmp_ge_f64_e32 vcc_lo, s[8:9], v[9:10]
	v_cmp_gt_f64_e64 s40, v[9:10], -s[8:9]
	s_wait_alu 0xfffd
	v_add_co_ci_u32_e64 v4, null, 0, v4, vcc_lo
	s_and_b32 s40, vcc_lo, s40
	s_cmp_lg_u32 s27, 0
	s_wait_alu 0xfffe
	v_cndmask_b32_e64 v10, v10, s3, s40
	v_cndmask_b32_e64 v9, v9, s8, s40
	s_cbranch_scc1 .LBB6_91
.LBB6_92:
	v_add_f64_e32 v[2:3], v[2:3], v[5:6]
	s_and_not1_b32 vcc_lo, exec_lo, s15
	s_delay_alu instid0(VALU_DEP_1) | instskip(NEXT) | instid1(VALU_DEP_1)
	v_add_f64_e64 v[6:7], v[7:8], -v[2:3]
	v_cmp_ge_f64_e64 s3, s[8:9], v[6:7]
	s_wait_alu 0xf1ff
	s_delay_alu instid0(VALU_DEP_1)
	v_cndmask_b32_e64 v5, 0, 1, s3
	s_wait_alu 0xfffe
	s_cbranch_vccnz .LBB6_95
; %bb.93:
	v_cmp_gt_f64_e64 s22, v[6:7], -s[8:9]
	s_xor_b32 s15, s9, 0x80000000
	s_add_nc_u64 s[4:5], s[18:19], s[38:39]
	v_mov_b32_e32 v8, 0
	s_wait_alu 0xfffe
	s_add_nc_u64 s[4:5], s[36:37], s[4:5]
	s_wait_alu 0xfffe
	s_add_nc_u64 s[4:5], s[4:5], 8
	s_and_b32 s3, s3, s22
	s_wait_alu 0xfffe
	v_cndmask_b32_e64 v7, v7, s15, s3
	v_cndmask_b32_e64 v6, v6, s8, s3
.LBB6_94:                               ; =>This Inner Loop Header: Depth=1
	s_clause 0x1
	global_load_b64 v[9:10], v8, s[16:17]
	global_load_b64 v[11:12], v8, s[4:5]
	s_add_co_i32 s33, s33, -1
	s_add_nc_u64 s[4:5], s[4:5], 8
	s_add_nc_u64 s[16:17], s[16:17], 8
	s_wait_loadcnt 0x1
	v_div_scale_f64 v[13:14], null, v[6:7], v[6:7], v[9:10]
	v_div_scale_f64 v[19:20], vcc_lo, v[9:10], v[6:7], v[9:10]
	s_wait_loadcnt 0x0
	v_add_f64_e64 v[11:12], v[11:12], -v[2:3]
	s_delay_alu instid0(VALU_DEP_3) | instskip(NEXT) | instid1(TRANS32_DEP_1)
	v_rcp_f64_e32 v[15:16], v[13:14]
	v_fma_f64 v[17:18], -v[13:14], v[15:16], 1.0
	s_delay_alu instid0(VALU_DEP_1) | instskip(NEXT) | instid1(VALU_DEP_1)
	v_fma_f64 v[15:16], v[15:16], v[17:18], v[15:16]
	v_fma_f64 v[17:18], -v[13:14], v[15:16], 1.0
	s_delay_alu instid0(VALU_DEP_1) | instskip(NEXT) | instid1(VALU_DEP_1)
	v_fma_f64 v[15:16], v[15:16], v[17:18], v[15:16]
	v_mul_f64_e32 v[17:18], v[19:20], v[15:16]
	s_delay_alu instid0(VALU_DEP_1) | instskip(SKIP_1) | instid1(VALU_DEP_1)
	v_fma_f64 v[13:14], -v[13:14], v[17:18], v[19:20]
	s_wait_alu 0xfffd
	v_div_fmas_f64 v[13:14], v[13:14], v[15:16], v[17:18]
	s_delay_alu instid0(VALU_DEP_1) | instskip(NEXT) | instid1(VALU_DEP_1)
	v_div_fixup_f64 v[6:7], v[13:14], v[6:7], v[9:10]
	v_add_f64_e64 v[6:7], v[11:12], -v[6:7]
	s_delay_alu instid0(VALU_DEP_1)
	v_cmp_ge_f64_e32 vcc_lo, s[8:9], v[6:7]
	v_cmp_gt_f64_e64 s3, v[6:7], -s[8:9]
	s_wait_alu 0xfffd
	v_add_co_ci_u32_e64 v5, null, 0, v5, vcc_lo
	s_and_b32 s3, vcc_lo, s3
	s_wait_alu 0xfffe
	s_cmp_lg_u32 s33, 0
	v_cndmask_b32_e64 v7, v7, s15, s3
	v_cndmask_b32_e64 v6, v6, s8, s3
	s_cbranch_scc1 .LBB6_94
.LBB6_95:
	s_ashr_i32 s15, s14, 31
	v_mov_b32_e32 v6, 0
	s_wait_alu 0xfffe
	s_lshl_b64 s[4:5], s[14:15], 3
	s_lshl_b64 s[16:17], s[14:15], 2
	s_wait_alu 0xfffe
	s_add_nc_u64 s[4:5], s[10:11], s[4:5]
	s_add_nc_u64 s[16:17], s[12:13], s[16:17]
	s_clause 0x1
	global_store_b128 v6, v[0:3], s[4:5] offset:-16
	global_store_b64 v6, v[4:5], s[16:17] offset:-8
.LBB6_96:
	s_wait_alu 0xfffe
	s_or_b32 exec_lo, exec_lo, s26
	s_mov_b32 s4, 0
	s_wait_loadcnt 0x0
	s_wait_storecnt 0x0
	s_barrier_signal -1
	s_barrier_wait -1
	global_inv scope:SCOPE_SE
                                        ; implicit-def: $vgpr3_vgpr4
                                        ; implicit-def: $vgpr1_vgpr2
	s_and_saveexec_b32 s3, s2
	s_cbranch_execz .LBB6_120
; %bb.97:
	s_cmp_gt_i32 s7, 0
	s_mov_b32 s4, 1
	s_cselect_b32 s33, -1, 0
	s_cmp_lt_i32 s7, 1
	s_cbranch_scc1 .LBB6_105
; %bb.98:
	v_mov_b32_e32 v4, 0
	s_cmp_lg_u64 s[28:29], 0
	s_add_nc_u64 s[16:17], s[10:11], 8
	s_cselect_b32 s15, -1, 0
	s_branch .LBB6_100
.LBB6_99:                               ;   in Loop: Header=BB6_100 Depth=1
	s_add_co_i32 s4, s4, 1
	s_add_nc_u64 s[16:17], s[16:17], 8
	s_wait_alu 0xfffe
	s_cmp_lg_u32 s4, s14
	s_cbranch_scc0 .LBB6_105
.LBB6_100:                              ; =>This Loop Header: Depth=1
                                        ;     Child Loop BB6_101 Depth 2
	s_wait_alu 0xfffe
	s_ashr_i32 s5, s4, 31
	s_add_co_i32 s23, s4, -1
	s_wait_alu 0xfffe
	s_lshl_b64 s[18:19], s[4:5], 3
	s_mov_b64 s[26:27], s[16:17]
	s_add_nc_u64 s[18:19], s[10:11], s[18:19]
	s_mov_b32 s28, s4
	global_load_b64 v[0:1], v4, s[18:19] offset:-8
	s_mov_b32 s22, s23
	s_wait_loadcnt 0x0
	v_dual_mov_b32 v3, v1 :: v_dual_mov_b32 v2, v0
.LBB6_101:                              ;   Parent Loop BB6_100 Depth=1
                                        ; =>  This Inner Loop Header: Depth=2
	global_load_b64 v[5:6], v4, s[26:27]
	s_wait_alu 0xfffe
	s_add_nc_u64 s[26:27], s[26:27], 8
	s_wait_loadcnt 0x0
	v_cmp_lt_f64_e32 vcc_lo, v[5:6], v[2:3]
	s_wait_alu 0xfffd
	v_dual_cndmask_b32 v3, v3, v6 :: v_dual_cndmask_b32 v2, v2, v5
	s_and_b32 s29, vcc_lo, exec_lo
	s_cselect_b32 s22, s28, s22
	s_add_co_i32 s28, s28, 1
	s_delay_alu instid0(SALU_CYCLE_1)
	s_cmp_eq_u32 s14, s28
	s_cbranch_scc0 .LBB6_101
; %bb.102:                              ;   in Loop: Header=BB6_100 Depth=1
	s_wait_alu 0xfffe
	s_cmp_lg_u32 s22, s23
	s_cbranch_scc0 .LBB6_99
; %bb.103:                              ;   in Loop: Header=BB6_100 Depth=1
	s_ashr_i32 s23, s22, 31
	s_and_not1_b32 vcc_lo, exec_lo, s15
	s_wait_alu 0xfffe
	s_lshl_b64 s[26:27], s[22:23], 3
	s_wait_alu 0xfffe
	s_add_nc_u64 s[26:27], s[10:11], s[26:27]
	s_clause 0x1
	global_store_b64 v4, v[0:1], s[26:27]
	global_store_b64 v4, v[2:3], s[18:19] offset:-8
	s_cbranch_vccnz .LBB6_99
; %bb.104:                              ;   in Loop: Header=BB6_100 Depth=1
	s_lshl_b64 s[18:19], s[4:5], 2
	s_lshl_b64 s[22:23], s[22:23], 2
	s_add_nc_u64 s[18:19], s[12:13], s[18:19]
	s_wait_alu 0xfffe
	s_add_nc_u64 s[22:23], s[12:13], s[22:23]
	s_clause 0x1
	global_load_b32 v0, v4, s[18:19] offset:-4
	global_load_b32 v1, v4, s[22:23]
	s_wait_loadcnt 0x1
	global_store_b32 v4, v0, s[22:23]
	s_wait_loadcnt 0x0
	global_store_b32 v4, v1, s[18:19] offset:-4
	s_branch .LBB6_99
.LBB6_105:
	v_mov_b32_e32 v0, 0
	s_ashr_i32 s15, s14, 31
	v_cvt_f64_i32_e32 v[7:8], s7
	s_wait_alu 0xfffe
	s_lshl_b64 s[4:5], s[14:15], 3
	s_load_b64 s[0:1], s[0:1], 0x18
	s_add_nc_u64 s[4:5], s[10:11], s[4:5]
	s_clause 0x1
	global_load_b64 v[1:2], v0, s[10:11]
	global_load_b64 v[3:4], v0, s[4:5] offset:-8
	s_wait_loadcnt 0x0
	v_cmp_lt_f64_e64 vcc_lo, |v[1:2]|, |v[3:4]|
	s_wait_alu 0xfffd
	v_dual_cndmask_b32 v6, v2, v4 :: v_dual_cndmask_b32 v5, v1, v3
	s_and_not1_b32 vcc_lo, exec_lo, s33
	s_delay_alu instid0(VALU_DEP_1) | instskip(NEXT) | instid1(VALU_DEP_1)
	v_mul_f64_e64 v[5:6], s[30:31], |v[5:6]|
	v_fma_f64 v[1:2], -v[5:6], v[7:8], v[1:2]
	v_fma_f64 v[3:4], v[5:6], v[7:8], v[3:4]
	s_delay_alu instid0(VALU_DEP_2) | instskip(NEXT) | instid1(VALU_DEP_2)
	v_add_f64_e64 v[1:2], v[1:2], -s[8:9]
	v_add_f64_e32 v[4:5], s[8:9], v[3:4]
	v_cndmask_b32_e64 v3, 0, 1, s33
	s_clause 0x1
	global_store_b64 v0, v[1:2], s[10:11]
	global_store_b64 v0, v[4:5], s[4:5] offset:-8
	s_wait_alu 0xfffe
	s_cbranch_vccnz .LBB6_111
; %bb.106:
	s_max_i32 s7, s14, 2
	s_add_nc_u64 s[4:5], s[12:13], 4
	s_wait_alu 0xfffe
	s_add_co_i32 s7, s7, -1
	s_mov_b32 s15, 0
	s_branch .LBB6_108
.LBB6_107:                              ;   in Loop: Header=BB6_108 Depth=1
	s_wait_alu 0xfffe
	s_add_co_i32 s15, s15, 1
	s_add_nc_u64 s[4:5], s[4:5], 4
	s_wait_alu 0xfffe
	s_cmp_eq_u32 s7, s15
	s_mov_b32 s16, s7
	s_cselect_b32 s17, -1, 0
	s_delay_alu instid0(SALU_CYCLE_1)
	s_and_not1_b32 vcc_lo, exec_lo, s17
	s_wait_alu 0xfffe
	s_cbranch_vccz .LBB6_110
.LBB6_108:                              ; =>This Inner Loop Header: Depth=1
	global_load_b32 v1, v0, s[4:5]
	s_wait_loadcnt 0x0
	s_wait_kmcnt 0x0
	v_cmp_le_i32_e32 vcc_lo, s0, v1
	s_cbranch_vccz .LBB6_107
; %bb.109:
	s_wait_alu 0xfffe
	s_mov_b32 s16, s15
                                        ; implicit-def: $sgpr4_sgpr5
.LBB6_110:
	s_mov_b32 s17, 0
	s_branch .LBB6_112
.LBB6_111:
	s_mov_b64 s[16:17], 0
.LBB6_112:
	v_mov_b32_e32 v0, 0
	s_lshl_b64 s[4:5], s[16:17], 3
	v_cmp_ne_u32_e32 vcc_lo, 1, v3
	s_wait_alu 0xfffe
	s_add_nc_u64 s[4:5], s[10:11], s[4:5]
	s_mov_b32 s7, 1
	global_load_b64 v[1:2], v0, s[4:5]
	s_cbranch_vccnz .LBB6_118
; %bb.113:
	s_max_i32 s14, s14, 2
	s_add_nc_u64 s[4:5], s[12:13], 4
	s_wait_alu 0xfffe
	s_add_co_i32 s15, s14, -1
	s_branch .LBB6_115
.LBB6_114:
	s_mov_b32 s0, s7
                                        ; implicit-def: $sgpr4_sgpr5
	s_branch .LBB6_117
.LBB6_115:                              ; =>This Inner Loop Header: Depth=1
	global_load_b32 v3, v0, s[4:5]
	s_wait_loadcnt 0x0
	s_wait_kmcnt 0x0
	v_cmp_gt_i32_e32 vcc_lo, s1, v3
	s_cbranch_vccz .LBB6_114
; %bb.116:                              ;   in Loop: Header=BB6_115 Depth=1
	s_add_co_i32 s7, s7, 1
	s_add_nc_u64 s[4:5], s[4:5], 4
	s_wait_alu 0xfffe
	s_cmp_eq_u32 s14, s7
	s_mov_b32 s0, s15
	s_cselect_b32 s12, -1, 0
	s_wait_alu 0xfffe
	s_and_not1_b32 vcc_lo, exec_lo, s12
	s_wait_alu 0xfffe
	s_cbranch_vccnz .LBB6_115
.LBB6_117:
	s_wait_alu 0xfffe
	s_ashr_i32 s1, s0, 31
	s_branch .LBB6_119
.LBB6_118:
	s_wait_kmcnt 0x0
	s_mov_b64 s[0:1], 0
.LBB6_119:
	v_mov_b32_e32 v0, 0
	s_wait_alu 0xfffe
	s_lshl_b64 s[0:1], s[0:1], 3
	s_mov_b32 s4, exec_lo
	s_wait_alu 0xfffe
	s_add_nc_u64 s[0:1], s[10:11], s[0:1]
	global_load_b64 v[3:4], v0, s[0:1]
.LBB6_120:
	s_wait_alu 0xfffe
	s_or_b32 exec_lo, exec_lo, s3
.LBB6_121:
	s_wait_alu 0xfffe
	s_and_saveexec_b32 s0, s4
	s_cbranch_execz .LBB6_124
; %bb.122:
	s_and_b32 exec_lo, exec_lo, s2
	s_cbranch_execz .LBB6_124
; %bb.123:
	s_wait_alu 0xfffe
	s_lshl_b32 s0, ttmp7, 1
	s_lshl_b64 s[2:3], s[34:35], 3
	s_wait_alu 0xfffe
	s_ashr_i32 s1, s0, 31
	v_dual_mov_b32 v0, 0 :: v_dual_mov_b32 v5, s8
	s_wait_alu 0xfffe
	s_lshl_b64 s[0:1], s[0:1], 3
	s_cmp_eq_u32 s6, 0xe7
	v_mov_b32_e32 v6, s9
	s_cselect_b32 s4, -1, 0
	s_add_nc_u64 s[2:3], s[20:21], s[2:3]
	s_wait_loadcnt 0x0
	s_wait_alu 0xfffe
	v_cndmask_b32_e64 v4, v4, 0, s4
	v_cndmask_b32_e64 v3, v3, 0, s4
	;; [unrolled: 1-line block ×4, first 2 shown]
	s_add_nc_u64 s[0:1], s[24:25], s[0:1]
	s_clause 0x1
	global_store_b64 v0, v[5:6], s[2:3]
	global_store_b128 v0, v[1:4], s[0:1]
.LBB6_124:
	s_endpgm
	.section	.rodata,"a",@progbits
	.p2align	6, 0x0
	.amdhsa_kernel _ZN9rocsolver6v33100L22stebz_splitting_kernelIdPdEEv15rocblas_erange_iT_S4_iiT0_iiS5_iiPiPS4_lS6_lS6_S7_S7_S7_S7_S6_S4_S4_
		.amdhsa_group_segment_fixed_size 3072
		.amdhsa_private_segment_fixed_size 0
		.amdhsa_kernarg_size 168
		.amdhsa_user_sgpr_count 2
		.amdhsa_user_sgpr_dispatch_ptr 0
		.amdhsa_user_sgpr_queue_ptr 0
		.amdhsa_user_sgpr_kernarg_segment_ptr 1
		.amdhsa_user_sgpr_dispatch_id 0
		.amdhsa_user_sgpr_private_segment_size 0
		.amdhsa_wavefront_size32 1
		.amdhsa_uses_dynamic_stack 0
		.amdhsa_enable_private_segment 0
		.amdhsa_system_sgpr_workgroup_id_x 1
		.amdhsa_system_sgpr_workgroup_id_y 1
		.amdhsa_system_sgpr_workgroup_id_z 0
		.amdhsa_system_sgpr_workgroup_info 0
		.amdhsa_system_vgpr_workitem_id 0
		.amdhsa_next_free_vgpr 26
		.amdhsa_next_free_sgpr 56
		.amdhsa_reserve_vcc 1
		.amdhsa_float_round_mode_32 0
		.amdhsa_float_round_mode_16_64 0
		.amdhsa_float_denorm_mode_32 3
		.amdhsa_float_denorm_mode_16_64 3
		.amdhsa_fp16_overflow 0
		.amdhsa_workgroup_processor_mode 1
		.amdhsa_memory_ordered 1
		.amdhsa_forward_progress 1
		.amdhsa_inst_pref_size 55
		.amdhsa_round_robin_scheduling 0
		.amdhsa_exception_fp_ieee_invalid_op 0
		.amdhsa_exception_fp_denorm_src 0
		.amdhsa_exception_fp_ieee_div_zero 0
		.amdhsa_exception_fp_ieee_overflow 0
		.amdhsa_exception_fp_ieee_underflow 0
		.amdhsa_exception_fp_ieee_inexact 0
		.amdhsa_exception_int_div_zero 0
	.end_amdhsa_kernel
	.section	.text._ZN9rocsolver6v33100L22stebz_splitting_kernelIdPdEEv15rocblas_erange_iT_S4_iiT0_iiS5_iiPiPS4_lS6_lS6_S7_S7_S7_S7_S6_S4_S4_,"axG",@progbits,_ZN9rocsolver6v33100L22stebz_splitting_kernelIdPdEEv15rocblas_erange_iT_S4_iiT0_iiS5_iiPiPS4_lS6_lS6_S7_S7_S7_S7_S6_S4_S4_,comdat
.Lfunc_end6:
	.size	_ZN9rocsolver6v33100L22stebz_splitting_kernelIdPdEEv15rocblas_erange_iT_S4_iiT0_iiS5_iiPiPS4_lS6_lS6_S7_S7_S7_S7_S6_S4_S4_, .Lfunc_end6-_ZN9rocsolver6v33100L22stebz_splitting_kernelIdPdEEv15rocblas_erange_iT_S4_iiT0_iiS5_iiPiPS4_lS6_lS6_S7_S7_S7_S7_S6_S4_S4_
                                        ; -- End function
	.set _ZN9rocsolver6v33100L22stebz_splitting_kernelIdPdEEv15rocblas_erange_iT_S4_iiT0_iiS5_iiPiPS4_lS6_lS6_S7_S7_S7_S7_S6_S4_S4_.num_vgpr, 26
	.set _ZN9rocsolver6v33100L22stebz_splitting_kernelIdPdEEv15rocblas_erange_iT_S4_iiT0_iiS5_iiPiPS4_lS6_lS6_S7_S7_S7_S7_S6_S4_S4_.num_agpr, 0
	.set _ZN9rocsolver6v33100L22stebz_splitting_kernelIdPdEEv15rocblas_erange_iT_S4_iiT0_iiS5_iiPiPS4_lS6_lS6_S7_S7_S7_S7_S6_S4_S4_.numbered_sgpr, 56
	.set _ZN9rocsolver6v33100L22stebz_splitting_kernelIdPdEEv15rocblas_erange_iT_S4_iiT0_iiS5_iiPiPS4_lS6_lS6_S7_S7_S7_S7_S6_S4_S4_.num_named_barrier, 0
	.set _ZN9rocsolver6v33100L22stebz_splitting_kernelIdPdEEv15rocblas_erange_iT_S4_iiT0_iiS5_iiPiPS4_lS6_lS6_S7_S7_S7_S7_S6_S4_S4_.private_seg_size, 0
	.set _ZN9rocsolver6v33100L22stebz_splitting_kernelIdPdEEv15rocblas_erange_iT_S4_iiT0_iiS5_iiPiPS4_lS6_lS6_S7_S7_S7_S7_S6_S4_S4_.uses_vcc, 1
	.set _ZN9rocsolver6v33100L22stebz_splitting_kernelIdPdEEv15rocblas_erange_iT_S4_iiT0_iiS5_iiPiPS4_lS6_lS6_S7_S7_S7_S7_S6_S4_S4_.uses_flat_scratch, 0
	.set _ZN9rocsolver6v33100L22stebz_splitting_kernelIdPdEEv15rocblas_erange_iT_S4_iiT0_iiS5_iiPiPS4_lS6_lS6_S7_S7_S7_S7_S6_S4_S4_.has_dyn_sized_stack, 0
	.set _ZN9rocsolver6v33100L22stebz_splitting_kernelIdPdEEv15rocblas_erange_iT_S4_iiT0_iiS5_iiPiPS4_lS6_lS6_S7_S7_S7_S7_S6_S4_S4_.has_recursion, 0
	.set _ZN9rocsolver6v33100L22stebz_splitting_kernelIdPdEEv15rocblas_erange_iT_S4_iiT0_iiS5_iiPiPS4_lS6_lS6_S7_S7_S7_S7_S6_S4_S4_.has_indirect_call, 0
	.section	.AMDGPU.csdata,"",@progbits
; Kernel info:
; codeLenInByte = 6928
; TotalNumSgprs: 58
; NumVgprs: 26
; ScratchSize: 0
; MemoryBound: 0
; FloatMode: 240
; IeeeMode: 1
; LDSByteSize: 3072 bytes/workgroup (compile time only)
; SGPRBlocks: 0
; VGPRBlocks: 3
; NumSGPRsForWavesPerEU: 58
; NumVGPRsForWavesPerEU: 26
; Occupancy: 16
; WaveLimiterHint : 0
; COMPUTE_PGM_RSRC2:SCRATCH_EN: 0
; COMPUTE_PGM_RSRC2:USER_SGPR: 2
; COMPUTE_PGM_RSRC2:TRAP_HANDLER: 0
; COMPUTE_PGM_RSRC2:TGID_X_EN: 1
; COMPUTE_PGM_RSRC2:TGID_Y_EN: 1
; COMPUTE_PGM_RSRC2:TGID_Z_EN: 0
; COMPUTE_PGM_RSRC2:TIDIG_COMP_CNT: 0
	.section	.text._ZN9rocsolver6v33100L22stebz_bisection_kernelIdPdEEv15rocblas_erange_iT_T0_iiS5_iiPiPS4_lS6_lS6_lS6_S6_S7_S7_S7_S7_S6_S4_S4_,"axG",@progbits,_ZN9rocsolver6v33100L22stebz_bisection_kernelIdPdEEv15rocblas_erange_iT_T0_iiS5_iiPiPS4_lS6_lS6_lS6_S6_S7_S7_S7_S7_S6_S4_S4_,comdat
	.globl	_ZN9rocsolver6v33100L22stebz_bisection_kernelIdPdEEv15rocblas_erange_iT_T0_iiS5_iiPiPS4_lS6_lS6_lS6_S6_S7_S7_S7_S7_S6_S4_S4_ ; -- Begin function _ZN9rocsolver6v33100L22stebz_bisection_kernelIdPdEEv15rocblas_erange_iT_T0_iiS5_iiPiPS4_lS6_lS6_lS6_S6_S7_S7_S7_S7_S6_S4_S4_
	.p2align	8
	.type	_ZN9rocsolver6v33100L22stebz_bisection_kernelIdPdEEv15rocblas_erange_iT_T0_iiS5_iiPiPS4_lS6_lS6_lS6_S6_S7_S7_S7_S7_S6_S4_S4_,@function
_ZN9rocsolver6v33100L22stebz_bisection_kernelIdPdEEv15rocblas_erange_iT_T0_iiS5_iiPiPS4_lS6_lS6_lS6_S6_S7_S7_S7_S7_S6_S4_S4_: ; @_ZN9rocsolver6v33100L22stebz_bisection_kernelIdPdEEv15rocblas_erange_iT_T0_iiS5_iiPiPS4_lS6_lS6_lS6_S6_S7_S7_S7_S7_S6_S4_S4_
; %bb.0:
	s_load_b512 s[4:19], s[0:1], 0x30
	s_mov_b32 s68, ttmp7
	s_ashr_i32 s69, ttmp7, 31
	s_delay_alu instid0(SALU_CYCLE_1)
	s_lshl_b64 s[2:3], s[68:69], 2
	s_wait_kmcnt 0x0
	s_add_nc_u64 s[4:5], s[4:5], s[2:3]
	s_load_b32 s33, s[4:5], 0x0
	s_wait_kmcnt 0x0
	s_cmp_ge_i32 ttmp9, s33
	s_cbranch_scc1 .LBB7_85
; %bb.1:
	s_load_b256 s[44:51], s[0:1], 0x70
	s_lshl_b64 s[4:5], s[68:69], 3
	s_mov_b32 s34, 0x55555555
	s_mov_b32 s35, 0x3fe55555
	;; [unrolled: 1-line block ×18, first 2 shown]
	s_wait_kmcnt 0x0
	s_add_nc_u64 s[4:5], s[46:47], s[4:5]
	s_mov_b32 s46, 0x6b47b09a
	s_load_b64 s[30:31], s[4:5], 0x0
	s_mov_b32 s47, 0x3fc38538
	s_clause 0x3
	s_load_b64 s[4:5], s[0:1], 0x0
	s_load_b256 s[20:27], s[0:1], 0x8
	s_load_b64 s[70:71], s[0:1], 0x28
	s_load_b256 s[36:43], s[0:1], 0x90
	s_wait_kmcnt 0x0
	s_mul_u64 s[42:43], s[8:9], s[68:69]
	s_lshl_b32 s72, ttmp7, 1
	s_mul_u64 s[12:13], s[12:13], s[68:69]
	s_mul_u64 s[16:17], s[16:17], s[68:69]
	s_add_nc_u64 s[8:9], s[18:19], s[2:3]
	s_lshl_b64 s[2:3], s[42:43], 3
	s_ashr_i32 s73, s72, 31
	s_lshl_b64 s[12:13], s[12:13], 2
	s_lshl_b64 s[16:17], s[16:17], 2
	s_add_nc_u64 s[6:7], s[6:7], s[2:3]
	s_lshl_b64 s[2:3], s[72:73], 3
	s_add_nc_u64 s[10:11], s[10:11], s[12:13]
	s_add_nc_u64 s[12:13], s[14:15], s[16:17]
	;; [unrolled: 1-line block ×3, first 2 shown]
	v_cmp_eq_u32_e64 s0, 0, v0
	v_cmp_ne_u32_e64 s1, 0, v0
	s_mul_i32 s50, s5, ttmp7
	v_frexp_mant_f64_e32 v[1:2], s[30:31]
	v_cmp_class_f64_e64 s29, s[30:31], 0x204
	v_cmp_lt_f64_e64 s2, s[20:21], 0
	s_ashr_i32 s17, s24, 31
	s_mov_b32 s16, s24
	s_ashr_i32 s19, s25, 31
	s_mov_b32 s18, s25
	;; [unrolled: 2-line block ×4, first 2 shown]
	s_mul_u64 s[18:19], s[18:19], s[68:69]
	s_lshl_b64 s[70:71], s[16:17], 3
	s_mul_u64 s[42:43], s[42:43], s[68:69]
	s_lshl_b64 s[68:69], s[24:25], 3
	s_lshl_b32 s24, s50, 2
	s_ashr_i32 s51, s50, 31
	s_ashr_i32 s25, s24, 31
	s_lshl_b64 s[50:51], s[50:51], 2
	s_lshl_b64 s[74:75], s[24:25], 3
	;; [unrolled: 1-line block ×4, first 2 shown]
	s_add_nc_u64 s[24:25], s[36:37], s[74:75]
	s_add_nc_u64 s[36:37], s[38:39], s[76:77]
	v_lshl_or_b32 v19, v0, 2, 0x1800
	v_lshl_or_b32 v21, v0, 4, 0x1000
	v_dual_mov_b32 v22, 0 :: v_dual_mov_b32 v23, 1
	s_mov_b32 s28, ttmp9
                                        ; implicit-def: $sgpr81
                                        ; implicit-def: $sgpr82
                                        ; implicit-def: $sgpr83
                                        ; implicit-def: $sgpr84
                                        ; implicit-def: $vgpr24
	v_cmp_gt_f64_e32 vcc_lo, s[34:35], v[1:2]
	v_cndmask_b32_e64 v3, 0, 1, vcc_lo
	s_delay_alu instid0(VALU_DEP_1) | instskip(NEXT) | instid1(VALU_DEP_1)
	v_ldexp_f64 v[1:2], v[1:2], v3
	v_add_f64_e32 v[3:4], 1.0, v[1:2]
	v_add_f64_e32 v[9:10], -1.0, v[1:2]
	s_delay_alu instid0(VALU_DEP_2) | instskip(SKIP_1) | instid1(VALU_DEP_1)
	v_rcp_f64_e32 v[5:6], v[3:4]
	v_add_f64_e32 v[11:12], -1.0, v[3:4]
	v_add_f64_e64 v[1:2], v[1:2], -v[11:12]
	s_delay_alu instid0(TRANS32_DEP_1) | instskip(NEXT) | instid1(VALU_DEP_1)
	v_fma_f64 v[7:8], -v[3:4], v[5:6], 1.0
	v_fma_f64 v[5:6], v[7:8], v[5:6], v[5:6]
	s_delay_alu instid0(VALU_DEP_1) | instskip(NEXT) | instid1(VALU_DEP_1)
	v_fma_f64 v[7:8], -v[3:4], v[5:6], 1.0
	v_fma_f64 v[5:6], v[7:8], v[5:6], v[5:6]
	s_delay_alu instid0(VALU_DEP_1) | instskip(NEXT) | instid1(VALU_DEP_1)
	v_mul_f64_e32 v[7:8], v[9:10], v[5:6]
	v_mul_f64_e32 v[13:14], v[3:4], v[7:8]
	s_delay_alu instid0(VALU_DEP_1) | instskip(NEXT) | instid1(VALU_DEP_1)
	v_fma_f64 v[3:4], v[7:8], v[3:4], -v[13:14]
	v_fma_f64 v[1:2], v[7:8], v[1:2], v[3:4]
	s_delay_alu instid0(VALU_DEP_1) | instskip(NEXT) | instid1(VALU_DEP_1)
	v_add_f64_e32 v[3:4], v[13:14], v[1:2]
	v_add_f64_e64 v[11:12], v[9:10], -v[3:4]
	v_add_f64_e64 v[13:14], v[3:4], -v[13:14]
	s_delay_alu instid0(VALU_DEP_2) | instskip(NEXT) | instid1(VALU_DEP_2)
	v_add_f64_e64 v[9:10], v[9:10], -v[11:12]
	v_add_f64_e64 v[1:2], v[13:14], -v[1:2]
	v_frexp_exp_i32_f64_e32 v13, s[30:31]
	s_delay_alu instid0(VALU_DEP_3) | instskip(NEXT) | instid1(VALU_DEP_1)
	v_add_f64_e64 v[3:4], v[9:10], -v[3:4]
	v_add_f64_e32 v[1:2], v[1:2], v[3:4]
	s_delay_alu instid0(VALU_DEP_1) | instskip(NEXT) | instid1(VALU_DEP_1)
	v_add_f64_e32 v[1:2], v[11:12], v[1:2]
	v_mul_f64_e32 v[1:2], v[5:6], v[1:2]
	s_delay_alu instid0(VALU_DEP_1) | instskip(NEXT) | instid1(VALU_DEP_1)
	v_add_f64_e32 v[3:4], v[7:8], v[1:2]
	v_mul_f64_e32 v[5:6], v[3:4], v[3:4]
	s_delay_alu instid0(VALU_DEP_1) | instskip(SKIP_1) | instid1(VALU_DEP_2)
	v_fma_f64 v[9:10], v[5:6], s[52:53], s[46:47]
	v_mul_f64_e32 v[11:12], v[3:4], v[5:6]
	v_fma_f64 v[9:10], v[5:6], v[9:10], s[54:55]
	s_delay_alu instid0(VALU_DEP_1) | instskip(NEXT) | instid1(VALU_DEP_1)
	v_fma_f64 v[9:10], v[5:6], v[9:10], s[56:57]
	v_fma_f64 v[9:10], v[5:6], v[9:10], s[58:59]
	s_delay_alu instid0(VALU_DEP_1) | instskip(NEXT) | instid1(VALU_DEP_1)
	v_fma_f64 v[9:10], v[5:6], v[9:10], s[60:61]
	v_fma_f64 v[5:6], v[5:6], v[9:10], s[62:63]
	v_ldexp_f64 v[9:10], v[3:4], 1
	v_add_f64_e64 v[3:4], v[3:4], -v[7:8]
	s_add_co_i32 s63, s5, -1
	s_wait_alu 0xfffe
	s_mul_i32 s16, s63, ttmp7
	s_delay_alu instid0(SALU_CYCLE_1) | instskip(NEXT) | instid1(SALU_CYCLE_1)
	s_ashr_i32 s17, s16, 31
	s_lshl_b64 s[72:73], s[16:17], 3
	s_add_nc_u64 s[16:17], s[44:45], s[50:51]
	s_lshl_b64 s[44:45], s[18:19], 3
	s_add_nc_u64 s[50:51], s[42:43], s[68:69]
	s_add_nc_u64 s[38:39], s[22:23], s[44:45]
	;; [unrolled: 1-line block ×4, first 2 shown]
	s_cmp_lg_u32 s4, 0xe7
	s_add_nc_u64 s[48:49], s[26:27], s[42:43]
	s_add_nc_u64 s[22:23], s[22:23], s[44:45]
	;; [unrolled: 1-line block ×3, first 2 shown]
	s_cselect_b32 s80, -1, 0
	s_add_nc_u64 s[38:39], s[38:39], s[70:71]
	s_add_nc_u64 s[42:43], s[48:49], s[68:69]
	;; [unrolled: 1-line block ×4, first 2 shown]
	s_delay_alu instid0(VALU_DEP_3) | instskip(SKIP_1) | instid1(VALU_DEP_3)
	v_mul_f64_e32 v[5:6], v[11:12], v[5:6]
	v_subrev_co_ci_u32_e64 v11, null, 0, v13, vcc_lo
	v_add_f64_e64 v[1:2], v[1:2], -v[3:4]
	v_cmp_nlt_f64_e64 vcc_lo, s[30:31], 0
	s_delay_alu instid0(VALU_DEP_3) | instskip(SKIP_1) | instid1(VALU_DEP_4)
	v_cvt_f64_i32_e32 v[11:12], v11
	v_add_f64_e32 v[7:8], v[9:10], v[5:6]
	v_ldexp_f64 v[1:2], v[1:2], 1
	s_delay_alu instid0(VALU_DEP_3) | instskip(NEXT) | instid1(VALU_DEP_3)
	v_mul_f64_e32 v[13:14], s[64:65], v[11:12]
	v_add_f64_e64 v[3:4], v[7:8], -v[9:10]
	s_delay_alu instid0(VALU_DEP_2) | instskip(NEXT) | instid1(VALU_DEP_2)
	v_fma_f64 v[9:10], v[11:12], s[64:65], -v[13:14]
	v_add_f64_e64 v[3:4], v[5:6], -v[3:4]
	s_delay_alu instid0(VALU_DEP_2) | instskip(NEXT) | instid1(VALU_DEP_2)
	v_fma_f64 v[5:6], v[11:12], s[66:67], v[9:10]
	v_add_f64_e32 v[1:2], v[1:2], v[3:4]
	s_delay_alu instid0(VALU_DEP_2) | instskip(NEXT) | instid1(VALU_DEP_2)
	v_add_f64_e32 v[3:4], v[13:14], v[5:6]
	v_add_f64_e32 v[9:10], v[7:8], v[1:2]
	s_delay_alu instid0(VALU_DEP_2) | instskip(NEXT) | instid1(VALU_DEP_2)
	v_add_f64_e64 v[13:14], v[3:4], -v[13:14]
	v_add_f64_e32 v[11:12], v[3:4], v[9:10]
	v_add_f64_e64 v[7:8], v[9:10], -v[7:8]
	s_delay_alu instid0(VALU_DEP_3) | instskip(NEXT) | instid1(VALU_DEP_3)
	v_add_f64_e64 v[5:6], v[5:6], -v[13:14]
	v_add_f64_e64 v[15:16], v[11:12], -v[3:4]
	s_delay_alu instid0(VALU_DEP_3) | instskip(NEXT) | instid1(VALU_DEP_2)
	v_add_f64_e64 v[1:2], v[1:2], -v[7:8]
	v_add_f64_e64 v[17:18], v[11:12], -v[15:16]
	;; [unrolled: 1-line block ×3, first 2 shown]
	s_delay_alu instid0(VALU_DEP_3) | instskip(NEXT) | instid1(VALU_DEP_3)
	v_add_f64_e32 v[9:10], v[5:6], v[1:2]
	v_add_f64_e64 v[3:4], v[3:4], -v[17:18]
	s_delay_alu instid0(VALU_DEP_1) | instskip(NEXT) | instid1(VALU_DEP_3)
	v_add_f64_e32 v[3:4], v[7:8], v[3:4]
	v_add_f64_e64 v[7:8], v[9:10], -v[5:6]
	s_delay_alu instid0(VALU_DEP_2) | instskip(NEXT) | instid1(VALU_DEP_2)
	v_add_f64_e32 v[3:4], v[9:10], v[3:4]
	v_add_f64_e64 v[9:10], v[9:10], -v[7:8]
	v_add_f64_e64 v[1:2], v[1:2], -v[7:8]
	s_delay_alu instid0(VALU_DEP_3) | instskip(NEXT) | instid1(VALU_DEP_3)
	v_add_f64_e32 v[13:14], v[11:12], v[3:4]
	v_add_f64_e64 v[5:6], v[5:6], -v[9:10]
	s_delay_alu instid0(VALU_DEP_2) | instskip(NEXT) | instid1(VALU_DEP_2)
	v_add_f64_e64 v[7:8], v[13:14], -v[11:12]
	v_add_f64_e32 v[1:2], v[1:2], v[5:6]
	s_delay_alu instid0(VALU_DEP_2) | instskip(NEXT) | instid1(VALU_DEP_1)
	v_add_f64_e64 v[3:4], v[3:4], -v[7:8]
	v_add_f64_e32 v[1:2], v[1:2], v[3:4]
	s_delay_alu instid0(VALU_DEP_1) | instskip(SKIP_1) | instid1(VALU_DEP_2)
	v_add_f64_e32 v[1:2], v[13:14], v[1:2]
	v_add_f64_e64 v[13:14], s[40:41], s[40:41]
	v_cndmask_b32_e64 v2, v2, s31, s29
	s_delay_alu instid0(VALU_DEP_3) | instskip(SKIP_1) | instid1(VALU_DEP_2)
	v_cndmask_b32_e64 v1, v1, s30, s29
	s_wait_alu 0xfffd
	v_cndmask_b32_e32 v2, 0x7ff80000, v2, vcc_lo
	v_cmp_nle_f64_e64 vcc_lo, s[30:31], 0
	s_wait_alu 0xfffd
	v_dual_cndmask_b32 v15, 0, v1 :: v_dual_lshlrev_b32 v20, 5, v0
	v_cmp_neq_f64_e64 vcc_lo, s[30:31], 0
	s_wait_alu 0xfffd
	v_cndmask_b32_e32 v16, 0xfff00000, v2, vcc_lo
	s_branch .LBB7_4
.LBB7_2:                                ;   in Loop: Header=BB7_4 Depth=1
	s_wait_alu 0xfffe
	s_or_b32 exec_lo, exec_lo, s3
	v_mov_b32_e32 v4, v24
	s_mov_b32 s63, s84
	s_mov_b32 s29, s83
	;; [unrolled: 1-line block ×4, first 2 shown]
.LBB7_3:                                ;   in Loop: Header=BB7_4 Depth=1
	v_mov_b32_e32 v24, v4
	s_add_co_i32 s28, s28, 64
	s_mov_b32 s81, s45
	s_wait_alu 0xfffe
	s_cmp_lt_i32 s28, s33
	s_mov_b32 s82, s76
	s_mov_b32 s83, s29
	s_mov_b32 s84, s63
	s_wait_loadcnt 0x0
	s_wait_storecnt 0x0
	s_barrier_signal -1
	s_barrier_wait -1
	global_inv scope:SCOPE_SE
	s_cbranch_scc0 .LBB7_85
.LBB7_4:                                ; =>This Loop Header: Depth=1
                                        ;     Child Loop BB7_9 Depth 2
                                        ;     Child Loop BB7_20 Depth 2
	;; [unrolled: 1-line block ×4, first 2 shown]
                                        ;       Child Loop BB7_37 Depth 3
                                        ;         Child Loop BB7_40 Depth 4
                                        ;         Child Loop BB7_53 Depth 4
                                        ;     Child Loop BB7_69 Depth 2
                                        ;       Child Loop BB7_71 Depth 3
	s_ashr_i32 s29, s28, 31
	s_cmp_eq_u32 s28, 0
	s_mov_b32 s44, 0
	s_cbranch_scc1 .LBB7_6
; %bb.5:                                ;   in Loop: Header=BB7_4 Depth=1
	s_wait_alu 0xfffe
	s_lshl_b64 s[44:45], s[28:29], 2
	s_delay_alu instid0(SALU_CYCLE_1)
	s_add_nc_u64 s[44:45], s[12:13], s[44:45]
	global_load_b32 v1, v22, s[44:45] offset:-4
	s_wait_loadcnt 0x0
	v_readfirstlane_b32 s44, v1
.LBB7_6:                                ;   in Loop: Header=BB7_4 Depth=1
	s_wait_alu 0xfffe
	s_lshl_b64 s[48:49], s[28:29], 2
	s_delay_alu instid0(SALU_CYCLE_1)
	s_add_nc_u64 s[50:51], s[12:13], s[48:49]
	global_load_b32 v1, v22, s[50:51]
	s_wait_loadcnt 0x0
	v_readfirstlane_b32 s4, v1
	s_sub_co_i32 s70, s4, s44
	s_wait_alu 0xfffe
	s_cmp_lg_u32 s70, 1
	s_cbranch_scc0 .LBB7_63
; %bb.7:                                ;   in Loop: Header=BB7_4 Depth=1
	s_ashr_i32 s45, s44, 31
	s_delay_alu instid0(SALU_CYCLE_1)
	s_lshl_b64 s[72:73], s[44:45], 3
	s_cmp_lt_i32 s70, 3
	s_wait_alu 0xfffe
	s_add_nc_u64 s[50:51], s[38:39], s[72:73]
	s_add_nc_u64 s[68:69], s[42:43], s[72:73]
	s_clause 0x1
	global_load_b64 v[9:10], v22, s[50:51]
	global_load_b64 v[5:6], v22, s[68:69]
	s_add_nc_u64 s[68:69], s[22:23], s[72:73]
	s_wait_loadcnt 0x0
	v_add_f64_e64 v[1:2], v[9:10], -|v[5:6]|
	v_add_f64_e64 v[3:4], v[9:10], |v[5:6]|
	v_and_b32_e32 v6, 0x7fffffff, v6
	s_cbranch_scc1 .LBB7_10
; %bb.8:                                ;   in Loop: Header=BB7_4 Depth=1
	s_add_co_i32 s29, s70, -2
	s_add_nc_u64 s[74:75], s[22:23], s[72:73]
	s_add_nc_u64 s[76:77], s[26:27], s[72:73]
.LBB7_9:                                ;   Parent Loop BB7_4 Depth=1
                                        ; =>  This Inner Loop Header: Depth=2
	s_clause 0x1
	global_load_b64 v[7:8], v22, s[74:75]
	global_load_b64 v[11:12], v22, s[76:77]
	s_wait_alu 0xfffe
	s_add_co_i32 s29, s29, -1
	s_add_nc_u64 s[74:75], s[74:75], 8
	s_wait_alu 0xfffe
	s_cmp_lg_u32 s29, 0
	s_add_nc_u64 s[76:77], s[76:77], 8
	s_wait_loadcnt 0x1
	v_add_f64_e64 v[17:18], v[7:8], -v[5:6]
	v_add_f64_e32 v[5:6], v[5:6], v[7:8]
	s_wait_loadcnt 0x0
	s_delay_alu instid0(VALU_DEP_2) | instskip(NEXT) | instid1(VALU_DEP_2)
	v_add_f64_e64 v[7:8], v[17:18], -|v[11:12]|
	v_add_f64_e64 v[17:18], v[5:6], |v[11:12]|
	v_dual_mov_b32 v5, v11 :: v_dual_and_b32 v6, 0x7fffffff, v12
	s_delay_alu instid0(VALU_DEP_3) | instskip(NEXT) | instid1(VALU_DEP_3)
	v_cmp_lt_f64_e32 vcc_lo, v[7:8], v[1:2]
	v_cmp_lt_f64_e64 s3, v[3:4], v[17:18]
	s_wait_alu 0xfffd
	v_dual_cndmask_b32 v2, v2, v8 :: v_dual_cndmask_b32 v1, v1, v7
	s_wait_alu 0xf1ff
	s_delay_alu instid0(VALU_DEP_2)
	v_cndmask_b32_e64 v4, v4, v18, s3
	v_cndmask_b32_e64 v3, v3, v17, s3
	s_cbranch_scc1 .LBB7_9
.LBB7_10:                               ;   in Loop: Header=BB7_4 Depth=1
	s_ashr_i32 s71, s70, 31
	s_wait_alu 0xfffe
	s_lshl_b64 s[74:75], s[70:71], 3
	s_delay_alu instid0(SALU_CYCLE_1) | instskip(SKIP_4) | instid1(VALU_DEP_2)
	s_add_nc_u64 s[74:75], s[50:51], s[74:75]
	global_load_b64 v[7:8], v22, s[74:75] offset:-8
	s_wait_loadcnt 0x0
	v_add_f64_e64 v[11:12], v[7:8], -v[5:6]
	v_add_f64_e32 v[5:6], v[5:6], v[7:8]
	v_cmp_lt_f64_e32 vcc_lo, v[11:12], v[1:2]
	s_delay_alu instid0(VALU_DEP_2) | instskip(SKIP_3) | instid1(VALU_DEP_2)
	v_cmp_lt_f64_e64 s3, v[3:4], v[5:6]
	s_wait_alu 0xfffd
	v_cndmask_b32_e32 v7, v2, v12, vcc_lo
	s_wait_alu 0xf1ff
	v_cndmask_b32_e64 v4, v4, v6, s3
	v_cndmask_b32_e32 v6, v1, v11, vcc_lo
	v_cndmask_b32_e64 v3, v3, v5, s3
	v_cvt_f64_i32_e32 v[11:12], s70
	s_delay_alu instid0(VALU_DEP_2) | instskip(SKIP_3) | instid1(VALU_DEP_1)
	v_cmp_lt_f64_e64 vcc_lo, |v[6:7]|, |v[3:4]|
	s_wait_alu 0xfffd
	v_dual_cndmask_b32 v2, v7, v4 :: v_dual_cndmask_b32 v1, v6, v3
	s_and_not1_b32 vcc_lo, exec_lo, s80
	v_mul_f64_e64 v[1:2], s[40:41], |v[1:2]|
	s_delay_alu instid0(VALU_DEP_1) | instskip(SKIP_1) | instid1(VALU_DEP_2)
	v_fma_f64 v[5:6], -v[1:2], v[11:12], v[6:7]
	v_fma_f64 v[3:4], v[1:2], v[11:12], v[3:4]
	v_add_f64_e64 v[5:6], v[5:6], -s[30:31]
	s_delay_alu instid0(VALU_DEP_2)
	v_add_f64_e32 v[7:8], s[30:31], v[3:4]
	s_wait_alu 0xfffe
	s_cbranch_vccnz .LBB7_12
; %bb.11:                               ;   in Loop: Header=BB7_4 Depth=1
	global_load_b128 v[25:28], v22, s[14:15]
	s_wait_loadcnt 0x0
	v_cmp_lt_f64_e32 vcc_lo, v[5:6], v[25:26]
	v_cmp_lt_f64_e64 s3, v[27:28], v[7:8]
	s_wait_alu 0xfffd
	v_dual_cndmask_b32 v6, v6, v26 :: v_dual_cndmask_b32 v5, v5, v25
	s_wait_alu 0xf1ff
	s_delay_alu instid0(VALU_DEP_2)
	v_cndmask_b32_e64 v8, v8, v28, s3
	v_cndmask_b32_e64 v7, v7, v27, s3
.LBB7_12:                               ;   in Loop: Header=BB7_4 Depth=1
	s_delay_alu instid0(VALU_DEP_1)
	v_cmp_nlt_f64_e32 vcc_lo, v[5:6], v[7:8]
	s_mov_b32 s3, -1
	s_cbranch_vccz .LBB7_16
; %bb.13:                               ;   in Loop: Header=BB7_4 Depth=1
	s_and_saveexec_b32 s3, s0
	s_cbranch_execz .LBB7_15
; %bb.14:                               ;   in Loop: Header=BB7_4 Depth=1
	s_add_nc_u64 s[74:75], s[16:17], s[48:49]
	ds_store_b16 v22, v22 offset:6660
	global_store_b32 v22, v22, s[74:75]
.LBB7_15:                               ;   in Loop: Header=BB7_4 Depth=1
	s_wait_alu 0xfffe
	s_or_b32 exec_lo, exec_lo, s3
	s_mov_b32 s3, 0
.LBB7_16:                               ;   in Loop: Header=BB7_4 Depth=1
	v_mov_b32_e32 v4, v24
	s_mov_b32 s63, s84
	s_wait_alu 0xfffe
	s_and_not1_b32 vcc_lo, exec_lo, s3
	s_mov_b32 s29, s83
	s_mov_b32 s45, s81
	s_wait_alu 0xfffe
	s_cbranch_vccnz .LBB7_29
; %bb.17:                               ;   in Loop: Header=BB7_4 Depth=1
	v_add_f64_e64 v[3:4], v[7:8], -v[5:6]
	s_mov_b32 s63, s35
	s_delay_alu instid0(VALU_DEP_1) | instskip(NEXT) | instid1(VALU_DEP_1)
	v_add_f64_e32 v[3:4], s[30:31], v[3:4]
	v_frexp_mant_f64_e32 v[11:12], v[3:4]
	s_delay_alu instid0(VALU_DEP_1) | instskip(SKIP_2) | instid1(VALU_DEP_1)
	v_cmp_gt_f64_e32 vcc_lo, s[34:35], v[11:12]
	s_wait_alu 0xfffd
	v_cndmask_b32_e64 v17, 0, 1, vcc_lo
	v_ldexp_f64 v[11:12], v[11:12], v17
	s_delay_alu instid0(VALU_DEP_1) | instskip(SKIP_1) | instid1(VALU_DEP_2)
	v_add_f64_e32 v[17:18], 1.0, v[11:12]
	v_add_f64_e32 v[29:30], -1.0, v[11:12]
	v_rcp_f64_e32 v[25:26], v[17:18]
	v_add_f64_e32 v[31:32], -1.0, v[17:18]
	s_delay_alu instid0(VALU_DEP_1) | instskip(NEXT) | instid1(TRANS32_DEP_1)
	v_add_f64_e64 v[11:12], v[11:12], -v[31:32]
	v_fma_f64 v[27:28], -v[17:18], v[25:26], 1.0
	s_delay_alu instid0(VALU_DEP_1) | instskip(NEXT) | instid1(VALU_DEP_1)
	v_fma_f64 v[25:26], v[27:28], v[25:26], v[25:26]
	v_fma_f64 v[27:28], -v[17:18], v[25:26], 1.0
	s_delay_alu instid0(VALU_DEP_1) | instskip(NEXT) | instid1(VALU_DEP_1)
	v_fma_f64 v[25:26], v[27:28], v[25:26], v[25:26]
	v_mul_f64_e32 v[27:28], v[29:30], v[25:26]
	s_delay_alu instid0(VALU_DEP_1) | instskip(NEXT) | instid1(VALU_DEP_1)
	v_mul_f64_e32 v[33:34], v[17:18], v[27:28]
	v_fma_f64 v[17:18], v[27:28], v[17:18], -v[33:34]
	s_delay_alu instid0(VALU_DEP_1) | instskip(NEXT) | instid1(VALU_DEP_1)
	v_fma_f64 v[11:12], v[27:28], v[11:12], v[17:18]
	v_add_f64_e32 v[17:18], v[33:34], v[11:12]
	s_delay_alu instid0(VALU_DEP_1) | instskip(SKIP_1) | instid1(VALU_DEP_2)
	v_add_f64_e64 v[31:32], v[29:30], -v[17:18]
	v_add_f64_e64 v[33:34], v[17:18], -v[33:34]
	;; [unrolled: 1-line block ×3, first 2 shown]
	s_delay_alu instid0(VALU_DEP_2) | instskip(SKIP_1) | instid1(VALU_DEP_3)
	v_add_f64_e64 v[11:12], v[33:34], -v[11:12]
	v_frexp_exp_i32_f64_e32 v33, v[3:4]
	v_add_f64_e64 v[17:18], v[29:30], -v[17:18]
	s_delay_alu instid0(VALU_DEP_1) | instskip(NEXT) | instid1(VALU_DEP_1)
	v_add_f64_e32 v[11:12], v[11:12], v[17:18]
	v_add_f64_e32 v[11:12], v[31:32], v[11:12]
	s_delay_alu instid0(VALU_DEP_1) | instskip(NEXT) | instid1(VALU_DEP_1)
	v_mul_f64_e32 v[11:12], v[25:26], v[11:12]
	v_add_f64_e32 v[17:18], v[27:28], v[11:12]
	s_delay_alu instid0(VALU_DEP_1) | instskip(NEXT) | instid1(VALU_DEP_1)
	v_mul_f64_e32 v[25:26], v[17:18], v[17:18]
	v_fma_f64 v[29:30], v[25:26], s[52:53], s[46:47]
	v_mul_f64_e32 v[31:32], v[17:18], v[25:26]
	s_delay_alu instid0(VALU_DEP_2) | instskip(NEXT) | instid1(VALU_DEP_1)
	v_fma_f64 v[29:30], v[25:26], v[29:30], s[54:55]
	v_fma_f64 v[29:30], v[25:26], v[29:30], s[56:57]
	s_delay_alu instid0(VALU_DEP_1) | instskip(NEXT) | instid1(VALU_DEP_1)
	v_fma_f64 v[29:30], v[25:26], v[29:30], s[58:59]
	v_fma_f64 v[29:30], v[25:26], v[29:30], s[60:61]
	s_wait_alu 0xfffe
	s_delay_alu instid0(VALU_DEP_1) | instskip(SKIP_2) | instid1(VALU_DEP_3)
	v_fma_f64 v[25:26], v[25:26], v[29:30], s[62:63]
	v_ldexp_f64 v[29:30], v[17:18], 1
	v_add_f64_e64 v[17:18], v[17:18], -v[27:28]
	v_mul_f64_e32 v[25:26], v[31:32], v[25:26]
	v_subrev_co_ci_u32_e64 v31, null, 0, v33, vcc_lo
	s_delay_alu instid0(VALU_DEP_3) | instskip(SKIP_1) | instid1(VALU_DEP_3)
	v_add_f64_e64 v[11:12], v[11:12], -v[17:18]
	v_cmp_class_f64_e64 vcc_lo, v[3:4], 0x204
	v_cvt_f64_i32_e32 v[31:32], v31
	v_add_f64_e32 v[27:28], v[29:30], v[25:26]
	s_delay_alu instid0(VALU_DEP_4) | instskip(NEXT) | instid1(VALU_DEP_3)
	v_ldexp_f64 v[11:12], v[11:12], 1
	v_mul_f64_e32 v[33:34], s[64:65], v[31:32]
	s_delay_alu instid0(VALU_DEP_3) | instskip(NEXT) | instid1(VALU_DEP_2)
	v_add_f64_e64 v[17:18], v[27:28], -v[29:30]
	v_fma_f64 v[29:30], v[31:32], s[64:65], -v[33:34]
	s_delay_alu instid0(VALU_DEP_2) | instskip(NEXT) | instid1(VALU_DEP_2)
	v_add_f64_e64 v[17:18], v[25:26], -v[17:18]
	v_fma_f64 v[25:26], v[31:32], s[66:67], v[29:30]
	s_delay_alu instid0(VALU_DEP_2) | instskip(NEXT) | instid1(VALU_DEP_2)
	v_add_f64_e32 v[11:12], v[11:12], v[17:18]
	v_add_f64_e32 v[17:18], v[33:34], v[25:26]
	s_delay_alu instid0(VALU_DEP_2) | instskip(NEXT) | instid1(VALU_DEP_2)
	v_add_f64_e32 v[29:30], v[27:28], v[11:12]
	v_add_f64_e64 v[33:34], v[17:18], -v[33:34]
	s_delay_alu instid0(VALU_DEP_2) | instskip(SKIP_1) | instid1(VALU_DEP_3)
	v_add_f64_e32 v[31:32], v[17:18], v[29:30]
	v_add_f64_e64 v[27:28], v[29:30], -v[27:28]
	v_add_f64_e64 v[25:26], v[25:26], -v[33:34]
	s_delay_alu instid0(VALU_DEP_3) | instskip(NEXT) | instid1(VALU_DEP_3)
	v_add_f64_e64 v[35:36], v[31:32], -v[17:18]
	v_add_f64_e64 v[11:12], v[11:12], -v[27:28]
	s_delay_alu instid0(VALU_DEP_2) | instskip(SKIP_1) | instid1(VALU_DEP_3)
	v_add_f64_e64 v[37:38], v[31:32], -v[35:36]
	v_add_f64_e64 v[27:28], v[29:30], -v[35:36]
	v_add_f64_e32 v[29:30], v[25:26], v[11:12]
	s_delay_alu instid0(VALU_DEP_3) | instskip(NEXT) | instid1(VALU_DEP_1)
	v_add_f64_e64 v[17:18], v[17:18], -v[37:38]
	v_add_f64_e32 v[17:18], v[27:28], v[17:18]
	s_delay_alu instid0(VALU_DEP_3) | instskip(NEXT) | instid1(VALU_DEP_2)
	v_add_f64_e64 v[27:28], v[29:30], -v[25:26]
	v_add_f64_e32 v[17:18], v[29:30], v[17:18]
	s_delay_alu instid0(VALU_DEP_2) | instskip(SKIP_1) | instid1(VALU_DEP_3)
	v_add_f64_e64 v[29:30], v[29:30], -v[27:28]
	v_add_f64_e64 v[11:12], v[11:12], -v[27:28]
	v_add_f64_e32 v[33:34], v[31:32], v[17:18]
	s_delay_alu instid0(VALU_DEP_3) | instskip(NEXT) | instid1(VALU_DEP_2)
	v_add_f64_e64 v[25:26], v[25:26], -v[29:30]
	v_add_f64_e64 v[27:28], v[33:34], -v[31:32]
	s_delay_alu instid0(VALU_DEP_2) | instskip(NEXT) | instid1(VALU_DEP_2)
	v_add_f64_e32 v[11:12], v[11:12], v[25:26]
	v_add_f64_e64 v[17:18], v[17:18], -v[27:28]
	s_delay_alu instid0(VALU_DEP_1) | instskip(NEXT) | instid1(VALU_DEP_1)
	v_add_f64_e32 v[11:12], v[11:12], v[17:18]
	v_add_f64_e32 v[11:12], v[33:34], v[11:12]
	s_wait_alu 0xfffd
	s_delay_alu instid0(VALU_DEP_1) | instskip(SKIP_2) | instid1(VALU_DEP_2)
	v_dual_cndmask_b32 v11, v11, v3 :: v_dual_cndmask_b32 v12, v12, v4
	v_cmp_ngt_f64_e32 vcc_lo, 0, v[3:4]
	s_wait_alu 0xfffd
	v_cndmask_b32_e32 v12, 0x7ff80000, v12, vcc_lo
	v_cmp_nge_f64_e32 vcc_lo, 0, v[3:4]
	s_wait_alu 0xfffd
	v_cndmask_b32_e32 v11, 0, v11, vcc_lo
	v_cmp_neq_f64_e32 vcc_lo, 0, v[3:4]
	s_wait_alu 0xfffd
	v_cndmask_b32_e32 v12, 0xfff00000, v12, vcc_lo
	s_delay_alu instid0(VALU_DEP_1) | instskip(NEXT) | instid1(VALU_DEP_1)
	v_add_f64_e64 v[3:4], v[11:12], -v[15:16]
	v_div_scale_f64 v[11:12], null, s[64:65], s[64:65], v[3:4]
	v_div_scale_f64 v[27:28], vcc_lo, v[3:4], s[64:65], v[3:4]
	s_delay_alu instid0(VALU_DEP_2) | instskip(NEXT) | instid1(TRANS32_DEP_1)
	v_rcp_f64_e32 v[17:18], v[11:12]
	v_fma_f64 v[25:26], -v[11:12], v[17:18], 1.0
	s_delay_alu instid0(VALU_DEP_1) | instskip(NEXT) | instid1(VALU_DEP_1)
	v_fma_f64 v[17:18], v[17:18], v[25:26], v[17:18]
	v_fma_f64 v[25:26], -v[11:12], v[17:18], 1.0
	s_delay_alu instid0(VALU_DEP_1) | instskip(NEXT) | instid1(VALU_DEP_1)
	v_fma_f64 v[17:18], v[17:18], v[25:26], v[17:18]
	v_mul_f64_e32 v[25:26], v[27:28], v[17:18]
	s_delay_alu instid0(VALU_DEP_1) | instskip(SKIP_1) | instid1(VALU_DEP_1)
	v_fma_f64 v[11:12], -v[11:12], v[25:26], v[27:28]
	s_wait_alu 0xfffd
	v_div_fmas_f64 v[11:12], v[11:12], v[17:18], v[25:26]
	s_delay_alu instid0(VALU_DEP_1) | instskip(NEXT) | instid1(VALU_DEP_1)
	v_div_fixup_f64 v[3:4], v[11:12], s[64:65], v[3:4]
	v_cvt_i32_f64_e32 v3, v[3:4]
	v_mov_b32_e32 v4, v24
	s_delay_alu instid0(VALU_DEP_2)
	v_readfirstlane_b32 s29, v3
	s_and_saveexec_b32 s45, s0
	s_cbranch_execz .LBB7_28
; %bb.18:                               ;   in Loop: Header=BB7_4 Depth=1
	v_add_f64_e64 v[11:12], v[9:10], -v[5:6]
	s_cmp_gt_i32 s70, 1
	s_add_nc_u64 s[74:75], s[18:19], s[72:73]
	s_cselect_b32 s63, -1, 0
	s_cmp_lt_i32 s70, 2
	ds_store_b8 v22, v22 offset:6661
	v_cmp_ge_f64_e32 vcc_lo, s[30:31], v[11:12]
	s_wait_alu 0xfffd
	v_cndmask_b32_e64 v3, 0, 1, vcc_lo
	s_cbranch_scc1 .LBB7_21
; %bb.19:                               ;   in Loop: Header=BB7_4 Depth=1
	v_cmp_gt_f64_e64 s71, v[11:12], -s[30:31]
	s_xor_b32 s3, s31, 0x80000000
	s_not_b32 s76, s44
	s_mov_b64 s[78:79], s[74:75]
	s_and_b32 s71, vcc_lo, s71
	s_wait_alu 0xfffe
	v_cndmask_b32_e64 v12, v12, s3, s71
	v_cndmask_b32_e64 v11, v11, s30, s71
	s_add_co_i32 s71, s76, s4
	s_add_nc_u64 s[76:77], s[22:23], s[72:73]
.LBB7_20:                               ;   Parent Loop BB7_4 Depth=1
                                        ; =>  This Inner Loop Header: Depth=2
	s_clause 0x1
	global_load_b64 v[17:18], v22, s[78:79]
	global_load_b64 v[25:26], v22, s[76:77]
	s_wait_alu 0xfffe
	s_add_co_i32 s71, s71, -1
	s_add_nc_u64 s[76:77], s[76:77], 8
	s_add_nc_u64 s[78:79], s[78:79], 8
	s_wait_loadcnt 0x1
	v_div_scale_f64 v[27:28], null, v[11:12], v[11:12], v[17:18]
	v_div_scale_f64 v[33:34], vcc_lo, v[17:18], v[11:12], v[17:18]
	s_wait_loadcnt 0x0
	v_add_f64_e64 v[25:26], v[25:26], -v[5:6]
	s_delay_alu instid0(VALU_DEP_3) | instskip(NEXT) | instid1(TRANS32_DEP_1)
	v_rcp_f64_e32 v[29:30], v[27:28]
	v_fma_f64 v[31:32], -v[27:28], v[29:30], 1.0
	s_delay_alu instid0(VALU_DEP_1) | instskip(NEXT) | instid1(VALU_DEP_1)
	v_fma_f64 v[29:30], v[29:30], v[31:32], v[29:30]
	v_fma_f64 v[31:32], -v[27:28], v[29:30], 1.0
	s_delay_alu instid0(VALU_DEP_1) | instskip(NEXT) | instid1(VALU_DEP_1)
	v_fma_f64 v[29:30], v[29:30], v[31:32], v[29:30]
	v_mul_f64_e32 v[31:32], v[33:34], v[29:30]
	s_delay_alu instid0(VALU_DEP_1) | instskip(SKIP_1) | instid1(VALU_DEP_1)
	v_fma_f64 v[27:28], -v[27:28], v[31:32], v[33:34]
	s_wait_alu 0xfffd
	v_div_fmas_f64 v[27:28], v[27:28], v[29:30], v[31:32]
	s_delay_alu instid0(VALU_DEP_1) | instskip(NEXT) | instid1(VALU_DEP_1)
	v_div_fixup_f64 v[11:12], v[27:28], v[11:12], v[17:18]
	v_add_f64_e64 v[11:12], v[25:26], -v[11:12]
	s_delay_alu instid0(VALU_DEP_1)
	v_cmp_ge_f64_e32 vcc_lo, s[30:31], v[11:12]
	v_cmp_gt_f64_e64 s85, v[11:12], -s[30:31]
	s_wait_alu 0xfffd
	v_add_co_ci_u32_e64 v3, null, 0, v3, vcc_lo
	s_and_b32 s85, vcc_lo, s85
	s_wait_alu 0xfffe
	s_cmp_lg_u32 s71, 0
	v_cndmask_b32_e64 v12, v12, s3, s85
	v_cndmask_b32_e64 v11, v11, s30, s85
	s_cbranch_scc1 .LBB7_20
.LBB7_21:                               ;   in Loop: Header=BB7_4 Depth=1
	v_add_f64_e64 v[9:10], v[9:10], -v[7:8]
	s_wait_alu 0xfffe
	s_and_not1_b32 vcc_lo, exec_lo, s63
	s_delay_alu instid0(VALU_DEP_1) | instskip(SKIP_1) | instid1(VALU_DEP_1)
	v_cmp_ge_f64_e64 s3, s[30:31], v[9:10]
	s_wait_alu 0xf1ff
	v_cndmask_b32_e64 v4, 0, 1, s3
	s_wait_alu 0xfffe
	s_cbranch_vccnz .LBB7_24
; %bb.22:                               ;   in Loop: Header=BB7_4 Depth=1
	v_cmp_gt_f64_e64 s71, v[9:10], -s[30:31]
	s_xor_b32 s63, s31, 0x80000000
	s_add_nc_u64 s[76:77], s[22:23], s[72:73]
	s_and_b32 s3, s3, s71
	s_wait_alu 0xfffe
	v_cndmask_b32_e64 v10, v10, s63, s3
	v_cndmask_b32_e64 v9, v9, s30, s3
	s_not_b32 s3, s44
	s_wait_alu 0xfffe
	s_add_co_i32 s3, s3, s4
.LBB7_23:                               ;   Parent Loop BB7_4 Depth=1
                                        ; =>  This Inner Loop Header: Depth=2
	s_clause 0x1
	global_load_b64 v[11:12], v22, s[74:75]
	global_load_b64 v[17:18], v22, s[76:77]
	s_wait_alu 0xfffe
	s_add_co_i32 s3, s3, -1
	s_add_nc_u64 s[76:77], s[76:77], 8
	s_add_nc_u64 s[74:75], s[74:75], 8
	s_wait_loadcnt 0x1
	v_div_scale_f64 v[25:26], null, v[9:10], v[9:10], v[11:12]
	v_div_scale_f64 v[31:32], vcc_lo, v[11:12], v[9:10], v[11:12]
	s_wait_loadcnt 0x0
	v_add_f64_e64 v[17:18], v[17:18], -v[7:8]
	s_delay_alu instid0(VALU_DEP_3) | instskip(NEXT) | instid1(TRANS32_DEP_1)
	v_rcp_f64_e32 v[27:28], v[25:26]
	v_fma_f64 v[29:30], -v[25:26], v[27:28], 1.0
	s_delay_alu instid0(VALU_DEP_1) | instskip(NEXT) | instid1(VALU_DEP_1)
	v_fma_f64 v[27:28], v[27:28], v[29:30], v[27:28]
	v_fma_f64 v[29:30], -v[25:26], v[27:28], 1.0
	s_delay_alu instid0(VALU_DEP_1) | instskip(NEXT) | instid1(VALU_DEP_1)
	v_fma_f64 v[27:28], v[27:28], v[29:30], v[27:28]
	v_mul_f64_e32 v[29:30], v[31:32], v[27:28]
	s_delay_alu instid0(VALU_DEP_1) | instskip(SKIP_1) | instid1(VALU_DEP_1)
	v_fma_f64 v[25:26], -v[25:26], v[29:30], v[31:32]
	s_wait_alu 0xfffd
	v_div_fmas_f64 v[25:26], v[25:26], v[27:28], v[29:30]
	s_delay_alu instid0(VALU_DEP_1) | instskip(NEXT) | instid1(VALU_DEP_1)
	v_div_fixup_f64 v[9:10], v[25:26], v[9:10], v[11:12]
	v_add_f64_e64 v[9:10], v[17:18], -v[9:10]
	s_delay_alu instid0(VALU_DEP_1)
	v_cmp_ge_f64_e32 vcc_lo, s[30:31], v[9:10]
	v_cmp_gt_f64_e64 s71, v[9:10], -s[30:31]
	s_wait_alu 0xfffd
	v_add_co_ci_u32_e64 v4, null, 0, v4, vcc_lo
	s_and_b32 s71, vcc_lo, s71
	s_wait_alu 0xfffe
	s_cmp_lg_u32 s3, 0
	v_cndmask_b32_e64 v10, v10, s63, s71
	v_cndmask_b32_e64 v9, v9, s30, s71
	s_cbranch_scc1 .LBB7_23
.LBB7_24:                               ;   in Loop: Header=BB7_4 Depth=1
	s_delay_alu instid0(VALU_DEP_1) | instskip(SKIP_1) | instid1(VALU_DEP_1)
	v_sub_nc_u32_e32 v9, v4, v3
	s_mov_b32 s3, -1
	v_cmp_gt_i32_e32 vcc_lo, 1, v9
	s_cbranch_vccz .LBB7_26
; %bb.25:                               ;   in Loop: Header=BB7_4 Depth=1
	s_add_nc_u64 s[74:75], s[16:17], s[48:49]
	s_mov_b32 s3, 0
	ds_store_b8 v22, v22 offset:6660
	global_store_b32 v22, v22, s[74:75]
.LBB7_26:                               ;   in Loop: Header=BB7_4 Depth=1
	s_wait_alu 0xfffe
	s_and_not1_b32 vcc_lo, exec_lo, s3
	s_wait_alu 0xfffe
	s_cbranch_vccnz .LBB7_28
; %bb.27:                               ;   in Loop: Header=BB7_4 Depth=1
	s_add_co_i32 s3, s44, s5
	s_add_nc_u64 s[76:77], s[16:17], s[48:49]
	s_wait_alu 0xfffe
	s_lshl_b32 s74, s3, 1
	ds_store_b8 v22, v23 offset:6660
	s_ashr_i32 s75, s74, 31
	s_delay_alu instid0(SALU_CYCLE_1)
	s_lshl_b64 s[78:79], s[74:75], 3
	s_lshl_b64 s[74:75], s[74:75], 2
	s_add_nc_u64 s[78:79], s[24:25], s[78:79]
	s_add_nc_u64 s[74:75], s[36:37], s[74:75]
	s_clause 0x2
	global_store_b128 v22, v[5:8], s[78:79]
	global_store_b32 v22, v9, s[76:77]
	global_store_b64 v22, v[3:4], s[74:75]
.LBB7_28:                               ;   in Loop: Header=BB7_4 Depth=1
	s_or_b32 exec_lo, exec_lo, s45
	s_add_co_i32 s29, s29, 2
	s_mov_b32 s45, 0
	s_mov_b32 s63, 1
.LBB7_29:                               ;   in Loop: Header=BB7_4 Depth=1
	s_wait_storecnt_dscnt 0x0
	s_barrier_signal -1
	s_barrier_wait -1
	global_inv scope:SCOPE_SE
	ds_load_u16 v3, v22 offset:6660
	s_wait_dscnt 0x0
	v_readfirstlane_b32 s3, v3
	s_bitcmp1_b32 s3, 0
	s_cselect_b32 s74, -1, 0
	s_bitcmp1_b32 s3, 8
	s_cselect_b32 s3, -1, 0
	s_wait_alu 0xfffe
	s_xor_b32 s71, s3, -1
	s_wait_alu 0xfffe
	s_and_b32 s71, s74, s71
	s_cmp_lt_i32 s45, s29
	s_cselect_b32 s75, -1, 0
	s_wait_alu 0xfffe
	s_and_b32 s71, s71, s75
	s_wait_alu 0xfffe
	s_and_not1_b32 vcc_lo, exec_lo, s71
	s_wait_alu 0xfffe
	s_cbranch_vccnz .LBB7_64
; %bb.30:                               ;   in Loop: Header=BB7_4 Depth=1
	v_cndmask_b32_e64 v2, s21, v2, s2
	v_cndmask_b32_e64 v1, s20, v1, s2
	s_add_co_i32 s3, s44, s5
	s_lshl_b32 s77, s44, 1
	s_wait_alu 0xfffe
	s_lshl_b32 s78, s3, 1
	s_cmp_gt_i32 s70, 1
	v_cmp_gt_f64_e32 vcc_lo, s[30:31], v[1:2]
	s_cselect_b32 s79, -1, 0
	s_not_b32 s85, s44
	s_add_nc_u64 s[70:71], s[18:19], s[72:73]
	s_wait_alu 0xfffe
	s_add_co_i32 s85, s85, s4
	s_wait_alu 0xfffd
	v_cndmask_b32_e64 v18, v2, s31, vcc_lo
	v_cndmask_b32_e64 v17, v1, s30, vcc_lo
	s_branch .LBB7_32
.LBB7_31:                               ;   in Loop: Header=BB7_32 Depth=2
	s_wait_alu 0xfffe
	s_or_b32 exec_lo, exec_lo, s3
	s_wait_loadcnt_dscnt 0x0
	s_barrier_signal -1
	s_barrier_wait -1
	global_inv scope:SCOPE_SE
	ds_load_u16 v1, v22 offset:6660
	s_add_co_i32 s45, s45, 1
	s_wait_dscnt 0x0
	v_readfirstlane_b32 s3, v1
	s_bitcmp1_b32 s3, 0
	s_cselect_b32 s74, -1, 0
	s_bitcmp1_b32 s3, 8
	s_cselect_b32 s3, -1, 0
	s_wait_alu 0xfffe
	s_xor_b32 s4, s3, -1
	s_wait_alu 0xfffe
	s_and_b32 s4, s74, s4
	s_cmp_lt_i32 s45, s29
	s_cselect_b32 s72, -1, 0
	s_wait_alu 0xfffe
	s_and_b32 s4, s4, s72
	s_wait_alu 0xfffe
	s_and_b32 vcc_lo, exec_lo, s4
	s_wait_alu 0xfffe
	s_cbranch_vccz .LBB7_65
.LBB7_32:                               ;   Parent Loop BB7_4 Depth=1
                                        ; =>  This Loop Header: Depth=2
                                        ;       Child Loop BB7_37 Depth 3
                                        ;         Child Loop BB7_40 Depth 4
                                        ;         Child Loop BB7_53 Depth 4
	s_and_saveexec_b32 s3, s0
; %bb.33:                               ;   in Loop: Header=BB7_32 Depth=2
	ds_store_b32 v22, v22 offset:6656
; %bb.34:                               ;   in Loop: Header=BB7_32 Depth=2
	s_wait_alu 0xfffe
	s_or_b32 exec_lo, exec_lo, s3
	s_bitcmp0_b32 s45, 0
	s_cselect_b32 s3, -1, 0
	s_wait_alu 0xfffe
	s_and_b32 s4, s3, exec_lo
	s_cselect_b32 s76, s77, s78
	s_cmp_lt_i32 s63, 1
	s_cbranch_scc1 .LBB7_60
; %bb.35:                               ;   in Loop: Header=BB7_32 Depth=2
	s_and_b32 s3, s3, exec_lo
	s_cselect_b32 s86, s78, s77
	s_mov_b32 s87, 0
	s_branch .LBB7_37
.LBB7_36:                               ;   in Loop: Header=BB7_37 Depth=3
	s_wait_alu 0xfffe
	s_or_b32 exec_lo, exec_lo, s4
	s_addk_co_i32 s87, 0x80
	s_wait_loadcnt_dscnt 0x0
	s_wait_alu 0xfffe
	s_cmp_ge_i32 s87, s63
	s_barrier_signal -1
	s_barrier_wait -1
	global_inv scope:SCOPE_SE
	s_cbranch_scc1 .LBB7_60
.LBB7_37:                               ;   Parent Loop BB7_4 Depth=1
                                        ;     Parent Loop BB7_32 Depth=2
                                        ; =>    This Loop Header: Depth=3
                                        ;         Child Loop BB7_40 Depth 4
                                        ;         Child Loop BB7_53 Depth 4
	s_wait_alu 0xfffe
	v_add_nc_u32_e32 v1, s87, v0
	s_delay_alu instid0(VALU_DEP_1)
	v_cmp_gt_i32_e64 s3, s63, v1
	s_and_saveexec_b32 s88, s3
	s_cbranch_execz .LBB7_50
; %bb.38:                               ;   in Loop: Header=BB7_37 Depth=3
	v_lshl_add_u32 v1, v1, 1, s86
	s_delay_alu instid0(VALU_DEP_1) | instskip(NEXT) | instid1(VALU_DEP_1)
	v_ashrrev_i32_e32 v2, 31, v1
	v_lshlrev_b64_e32 v[3:4], 3, v[1:2]
	v_lshlrev_b64_e32 v[1:2], 2, v[1:2]
	s_delay_alu instid0(VALU_DEP_2) | instskip(SKIP_1) | instid1(VALU_DEP_3)
	v_add_co_u32 v3, vcc_lo, s24, v3
	s_wait_alu 0xfffd
	v_add_co_ci_u32_e64 v4, null, s25, v4, vcc_lo
	s_delay_alu instid0(VALU_DEP_3)
	v_add_co_u32 v1, vcc_lo, s36, v1
	s_wait_alu 0xfffd
	v_add_co_ci_u32_e64 v2, null, s37, v2, vcc_lo
	global_load_b128 v[5:8], v[3:4], off
	global_load_b64 v[9:10], v22, s[50:51]
	s_and_not1_b32 vcc_lo, exec_lo, s79
	global_load_b64 v[3:4], v[1:2], off
	s_wait_loadcnt 0x2
	v_add_f64_e32 v[11:12], v[5:6], v[7:8]
	s_wait_loadcnt 0x1
	s_delay_alu instid0(VALU_DEP_1) | instskip(SKIP_1) | instid1(VALU_DEP_2)
	v_fma_f64 v[1:2], v[11:12], -0.5, v[9:10]
	v_mul_f64_e32 v[9:10], 0.5, v[11:12]
	v_cmp_ge_f64_e64 s4, s[30:31], v[1:2]
	s_wait_alu 0xf1ff
	s_delay_alu instid0(VALU_DEP_1)
	v_cndmask_b32_e64 v11, 0, 1, s4
	s_wait_alu 0xfffe
	s_cbranch_vccnz .LBB7_41
; %bb.39:                               ;   in Loop: Header=BB7_37 Depth=3
	v_cmp_gt_f64_e64 s72, v[1:2], -s[30:31]
	s_xor_b32 s89, s31, 0x80000000
	s_mov_b64 s[74:75], s[68:69]
	s_and_b32 s4, s4, s72
	s_mov_b64 s[72:73], s[70:71]
	s_wait_alu 0xfffe
	v_cndmask_b32_e64 v2, v2, s89, s4
	v_cndmask_b32_e64 v1, v1, s30, s4
	s_mov_b32 s4, s85
.LBB7_40:                               ;   Parent Loop BB7_4 Depth=1
                                        ;     Parent Loop BB7_32 Depth=2
                                        ;       Parent Loop BB7_37 Depth=3
                                        ; =>      This Inner Loop Header: Depth=4
	s_clause 0x1
	global_load_b64 v[25:26], v22, s[72:73]
	global_load_b64 v[27:28], v22, s[74:75]
	s_wait_alu 0xfffe
	s_add_co_i32 s4, s4, -1
	s_add_nc_u64 s[74:75], s[74:75], 8
	s_add_nc_u64 s[72:73], s[72:73], 8
	s_wait_loadcnt 0x1
	v_div_scale_f64 v[29:30], null, v[1:2], v[1:2], v[25:26]
	v_div_scale_f64 v[35:36], vcc_lo, v[25:26], v[1:2], v[25:26]
	s_wait_loadcnt 0x0
	v_add_f64_e64 v[27:28], v[27:28], -v[9:10]
	s_delay_alu instid0(VALU_DEP_3) | instskip(NEXT) | instid1(TRANS32_DEP_1)
	v_rcp_f64_e32 v[31:32], v[29:30]
	v_fma_f64 v[33:34], -v[29:30], v[31:32], 1.0
	s_delay_alu instid0(VALU_DEP_1) | instskip(NEXT) | instid1(VALU_DEP_1)
	v_fma_f64 v[31:32], v[31:32], v[33:34], v[31:32]
	v_fma_f64 v[33:34], -v[29:30], v[31:32], 1.0
	s_delay_alu instid0(VALU_DEP_1) | instskip(NEXT) | instid1(VALU_DEP_1)
	v_fma_f64 v[31:32], v[31:32], v[33:34], v[31:32]
	v_mul_f64_e32 v[33:34], v[35:36], v[31:32]
	s_delay_alu instid0(VALU_DEP_1) | instskip(SKIP_1) | instid1(VALU_DEP_1)
	v_fma_f64 v[29:30], -v[29:30], v[33:34], v[35:36]
	s_wait_alu 0xfffd
	v_div_fmas_f64 v[29:30], v[29:30], v[31:32], v[33:34]
	s_delay_alu instid0(VALU_DEP_1) | instskip(NEXT) | instid1(VALU_DEP_1)
	v_div_fixup_f64 v[1:2], v[29:30], v[1:2], v[25:26]
	v_add_f64_e64 v[1:2], v[27:28], -v[1:2]
	s_delay_alu instid0(VALU_DEP_1)
	v_cmp_ge_f64_e32 vcc_lo, s[30:31], v[1:2]
	v_cmp_gt_f64_e64 s90, v[1:2], -s[30:31]
	s_wait_alu 0xfffd
	v_add_co_ci_u32_e64 v11, null, 0, v11, vcc_lo
	s_and_b32 s90, vcc_lo, s90
	s_wait_alu 0xfffe
	s_cmp_lg_u32 s4, 0
	v_cndmask_b32_e64 v2, v2, s89, s90
	v_cndmask_b32_e64 v1, v1, s30, s90
	s_cbranch_scc1 .LBB7_40
.LBB7_41:                               ;   in Loop: Header=BB7_37 Depth=3
	s_wait_loadcnt 0x0
	s_delay_alu instid0(VALU_DEP_1) | instskip(SKIP_1) | instid1(VALU_DEP_1)
	v_max_i32_e32 v1, v11, v3
	s_mov_b32 s4, exec_lo
	v_min_i32_e32 v2, v1, v4
	s_delay_alu instid0(VALU_DEP_1)
	v_cmpx_ne_u32_e64 v2, v3
	s_wait_alu 0xfffe
	s_xor_b32 s4, exec_lo, s4
	s_cbranch_execz .LBB7_47
; %bb.42:                               ;   in Loop: Header=BB7_37 Depth=3
	s_mov_b32 s72, exec_lo
	v_cmpx_le_i32_e64 v4, v1
	s_wait_alu 0xfffe
	s_xor_b32 s72, exec_lo, s72
	s_cbranch_execz .LBB7_44
; %bb.43:                               ;   in Loop: Header=BB7_37 Depth=3
	v_dual_mov_b32 v7, v9 :: v_dual_mov_b32 v8, v10
	v_mov_b32_e32 v1, v3
                                        ; implicit-def: $vgpr9_vgpr10
	ds_store_b32 v19, v22
	ds_store_b128 v20, v[5:8]
	ds_store_b64 v21, v[1:2]
                                        ; implicit-def: $vgpr5_vgpr6
.LBB7_44:                               ;   in Loop: Header=BB7_37 Depth=3
	s_wait_alu 0xfffe
	s_and_not1_saveexec_b32 s72, s72
	s_cbranch_execz .LBB7_46
; %bb.45:                               ;   in Loop: Header=BB7_37 Depth=3
	v_dual_mov_b32 v25, v5 :: v_dual_mov_b32 v26, v6
	v_dual_mov_b32 v27, v9 :: v_dual_mov_b32 v28, v10
	v_dual_mov_b32 v11, v7 :: v_dual_mov_b32 v12, v8
	v_mov_b32_e32 v1, v3
	v_mov_b32_e32 v3, v2
	ds_store_b32 v19, v23
	ds_store_b128 v20, v[25:28]
	ds_store_b128 v20, v[9:12] offset:16
	ds_store_b128 v21, v[1:4]
.LBB7_46:                               ;   in Loop: Header=BB7_37 Depth=3
	s_wait_alu 0xfffe
	s_or_b32 exec_lo, exec_lo, s72
                                        ; implicit-def: $vgpr9_vgpr10
                                        ; implicit-def: $vgpr7_vgpr8
.LBB7_47:                               ;   in Loop: Header=BB7_37 Depth=3
	s_wait_alu 0xfffe
	s_and_not1_saveexec_b32 s4, s4
	s_cbranch_execz .LBB7_49
; %bb.48:                               ;   in Loop: Header=BB7_37 Depth=3
	v_dual_mov_b32 v11, v7 :: v_dual_mov_b32 v12, v8
	ds_store_b32 v19, v22
	ds_store_b128 v20, v[9:12]
	ds_store_b64 v21, v[3:4]
.LBB7_49:                               ;   in Loop: Header=BB7_37 Depth=3
	s_wait_alu 0xfffe
	s_or_b32 exec_lo, exec_lo, s4
.LBB7_50:                               ;   in Loop: Header=BB7_37 Depth=3
	s_wait_alu 0xfffe
	s_or_b32 exec_lo, exec_lo, s88
	s_wait_loadcnt_dscnt 0x0
	s_barrier_signal -1
	s_barrier_wait -1
	global_inv scope:SCOPE_SE
	s_and_saveexec_b32 s4, s3
	s_cbranch_execz .LBB7_58
; %bb.51:                               ;   in Loop: Header=BB7_37 Depth=3
	v_mov_b32_e32 v4, 0
	s_and_saveexec_b32 s3, s1
	s_cbranch_execz .LBB7_55
; %bb.52:                               ;   in Loop: Header=BB7_37 Depth=3
	v_dual_mov_b32 v4, 0 :: v_dual_mov_b32 v1, v0
	s_movk_i32 s73, 0x1800
	s_mov_b32 s72, 0
.LBB7_53:                               ;   Parent Loop BB7_4 Depth=1
                                        ;     Parent Loop BB7_32 Depth=2
                                        ;       Parent Loop BB7_37 Depth=3
                                        ; =>      This Inner Loop Header: Depth=4
	s_wait_alu 0xfffe
	s_delay_alu instid0(VALU_DEP_1)
	v_dual_mov_b32 v2, s73 :: v_dual_add_nc_u32 v1, -1, v1
	s_add_co_i32 s73, s73, 4
	ds_load_b32 v2, v2
	v_cmp_eq_u32_e32 vcc_lo, 0, v1
	s_or_b32 s72, vcc_lo, s72
	s_wait_dscnt 0x0
	v_add_nc_u32_e32 v4, v2, v4
	s_wait_alu 0xfffe
	s_and_not1_b32 exec_lo, exec_lo, s72
	s_cbranch_execnz .LBB7_53
; %bb.54:                               ;   in Loop: Header=BB7_37 Depth=3
	s_or_b32 exec_lo, exec_lo, s72
.LBB7_55:                               ;   in Loop: Header=BB7_37 Depth=3
	s_wait_alu 0xfffe
	s_or_b32 exec_lo, exec_lo, s3
	ds_load_b32 v1, v22 offset:6656
	ds_load_b64 v[11:12], v21
	ds_load_b32 v3, v19
	ds_load_b128 v[7:10], v20
	s_mov_b32 s3, exec_lo
	s_wait_dscnt 0x3
	v_add3_u32 v1, v4, v0, v1
	s_delay_alu instid0(VALU_DEP_1) | instskip(NEXT) | instid1(VALU_DEP_1)
	v_lshl_add_u32 v1, v1, 1, s76
	v_ashrrev_i32_e32 v2, 31, v1
	s_delay_alu instid0(VALU_DEP_1) | instskip(SKIP_1) | instid1(VALU_DEP_2)
	v_lshlrev_b64_e32 v[5:6], 3, v[1:2]
	v_lshlrev_b64_e32 v[25:26], 2, v[1:2]
	v_add_co_u32 v1, vcc_lo, s24, v5
	s_wait_alu 0xfffd
	s_delay_alu instid0(VALU_DEP_3) | instskip(NEXT) | instid1(VALU_DEP_3)
	v_add_co_ci_u32_e64 v2, null, s25, v6, vcc_lo
	v_add_co_u32 v5, vcc_lo, s36, v25
	s_wait_alu 0xfffd
	v_add_co_ci_u32_e64 v6, null, s37, v26, vcc_lo
	s_wait_dscnt 0x0
	global_store_b128 v[1:2], v[7:10], off
	global_store_b64 v[5:6], v[11:12], off
	v_cmpx_ne_u32_e32 0, v3
	s_cbranch_execz .LBB7_57
; %bb.56:                               ;   in Loop: Header=BB7_37 Depth=3
	ds_load_b128 v[7:10], v20 offset:16
	ds_load_b64 v[11:12], v21 offset:8
	s_wait_dscnt 0x1
	global_store_b128 v[1:2], v[7:10], off offset:16
	s_wait_dscnt 0x0
	global_store_b64 v[5:6], v[11:12], off offset:8
.LBB7_57:                               ;   in Loop: Header=BB7_37 Depth=3
	s_wait_alu 0xfffe
	s_or_b32 exec_lo, exec_lo, s3
.LBB7_58:                               ;   in Loop: Header=BB7_37 Depth=3
	s_wait_alu 0xfffe
	s_or_b32 exec_lo, exec_lo, s4
	s_sub_co_i32 s3, s63, s87
	s_wait_loadcnt 0x0
	s_wait_storecnt 0x0
	s_wait_alu 0xfffe
	s_min_i32 s3, s3, 0x80
	s_barrier_signal -1
	s_wait_alu 0xfffe
	s_add_co_i32 s4, s3, -1
	s_barrier_wait -1
	s_wait_alu 0xfffe
	v_cmp_eq_u32_e32 vcc_lo, s4, v0
	global_inv scope:SCOPE_SE
	s_and_saveexec_b32 s4, vcc_lo
	s_cbranch_execz .LBB7_36
; %bb.59:                               ;   in Loop: Header=BB7_37 Depth=3
	ds_load_b32 v1, v19
	ds_load_b32 v2, v22 offset:6656
	v_add_nc_u32_e32 v3, s3, v4
	s_wait_dscnt 0x0
	s_delay_alu instid0(VALU_DEP_1)
	v_add3_u32 v1, v3, v1, v2
	ds_store_b32 v22, v1 offset:6656
	s_branch .LBB7_36
.LBB7_60:                               ;   in Loop: Header=BB7_32 Depth=2
	ds_load_b32 v1, v22 offset:6656
	s_wait_dscnt 0x0
	v_readfirstlane_b32 s63, v1
	s_and_saveexec_b32 s3, s0
	s_cbranch_execz .LBB7_31
; %bb.61:                               ;   in Loop: Header=BB7_32 Depth=2
	ds_load_b128 v[5:8], v22
	s_wait_dscnt 0x0
	v_cmp_lt_f64_e64 vcc_lo, |v[5:6]|, |v[7:8]|
	s_wait_alu 0xfffd
	v_dual_cndmask_b32 v2, v6, v8 :: v_dual_cndmask_b32 v1, v5, v7
	v_add_f64_e64 v[5:6], v[7:8], -v[5:6]
	s_delay_alu instid0(VALU_DEP_2) | instskip(NEXT) | instid1(VALU_DEP_1)
	v_mul_f64_e64 v[1:2], v[13:14], |v[1:2]|
	v_cmp_lt_f64_e32 vcc_lo, v[17:18], v[1:2]
	s_wait_alu 0xfffd
	v_dual_cndmask_b32 v2, v18, v2 :: v_dual_cndmask_b32 v1, v17, v1
	s_delay_alu instid0(VALU_DEP_1)
	v_cmp_nlt_f64_e32 vcc_lo, v[5:6], v[1:2]
	s_cbranch_vccnz .LBB7_31
; %bb.62:                               ;   in Loop: Header=BB7_32 Depth=2
	ds_store_b8 v22, v23 offset:6661
	s_branch .LBB7_31
.LBB7_63:                               ;   in Loop: Header=BB7_4 Depth=1
                                        ; implicit-def: $sgpr45
                                        ; implicit-def: $sgpr76
                                        ; implicit-def: $sgpr29
                                        ; implicit-def: $sgpr63
                                        ; implicit-def: $vgpr4
	s_cbranch_execz .LBB7_3
	s_branch .LBB7_77
.LBB7_64:                               ;   in Loop: Header=BB7_4 Depth=1
	s_mov_b32 s76, s82
.LBB7_65:                               ;   in Loop: Header=BB7_4 Depth=1
	s_and_b32 s50, s0, s74
	s_delay_alu instid0(SALU_CYCLE_1)
	s_and_saveexec_b32 s4, s50
	s_cbranch_execz .LBB7_76
; %bb.66:                               ;   in Loop: Header=BB7_4 Depth=1
	s_cmp_lt_i32 s63, 1
	s_cbranch_scc1 .LBB7_74
; %bb.67:                               ;   in Loop: Header=BB7_4 Depth=1
	s_add_co_i32 s50, s28, 1
	s_not_b32 s51, s28
	s_and_b32 s68, s3, exec_lo
	s_cselect_b32 s70, s50, s51
	s_mov_b32 s71, 0
	s_mov_b32 s72, 0
	s_branch .LBB7_69
.LBB7_68:                               ;   in Loop: Header=BB7_69 Depth=2
	s_add_co_i32 s71, s71, 1
	s_wait_alu 0xfffe
	s_cmp_eq_u32 s71, s63
	s_cbranch_scc1 .LBB7_73
.LBB7_69:                               ;   Parent Loop BB7_4 Depth=1
                                        ; =>  This Loop Header: Depth=2
                                        ;       Child Loop BB7_71 Depth 3
	s_wait_alu 0xfffe
	s_lshl_b32 s50, s71, 1
	s_delay_alu instid0(SALU_CYCLE_1) | instskip(NEXT) | instid1(SALU_CYCLE_1)
	s_add_co_i32 s50, s50, s76
	s_ashr_i32 s51, s50, 31
	s_delay_alu instid0(SALU_CYCLE_1) | instskip(NEXT) | instid1(SALU_CYCLE_1)
	s_lshl_b64 s[68:69], s[50:51], 2
	s_add_nc_u64 s[68:69], s[36:37], s[68:69]
	global_load_b64 v[1:2], v22, s[68:69]
	s_wait_loadcnt 0x0
	v_readfirstlane_b32 s68, v1
	v_readfirstlane_b32 s73, v2
	s_sub_co_i32 s74, s73, s68
	s_delay_alu instid0(SALU_CYCLE_1)
	s_cmp_lt_i32 s74, 1
	s_cbranch_scc1 .LBB7_68
; %bb.70:                               ;   in Loop: Header=BB7_69 Depth=2
	s_lshl_b64 s[50:51], s[50:51], 3
	s_mov_b32 s75, 0
	s_add_nc_u64 s[50:51], s[24:25], s[50:51]
	global_load_b128 v[1:4], v22, s[50:51]
	s_add_co_i32 s50, s44, s72
	s_delay_alu instid0(SALU_CYCLE_1) | instskip(NEXT) | instid1(SALU_CYCLE_1)
	s_ashr_i32 s51, s50, 31
	s_lshl_b64 s[68:69], s[50:51], 3
	s_lshl_b64 s[78:79], s[50:51], 2
	s_add_nc_u64 s[50:51], s[6:7], s[68:69]
	s_add_nc_u64 s[68:69], s[10:11], s[78:79]
	s_wait_loadcnt 0x0
	v_add_f64_e32 v[1:2], v[1:2], v[3:4]
	s_delay_alu instid0(VALU_DEP_1)
	v_mul_f64_e32 v[1:2], 0.5, v[1:2]
.LBB7_71:                               ;   Parent Loop BB7_4 Depth=1
                                        ;     Parent Loop BB7_69 Depth=2
                                        ; =>    This Inner Loop Header: Depth=3
	v_mov_b32_e32 v3, s70
	s_add_co_i32 s75, s75, 1
	global_store_b64 v22, v[1:2], s[50:51]
	s_add_nc_u64 s[50:51], s[50:51], 8
	s_cmp_ge_i32 s75, s74
	global_store_b32 v22, v3, s[68:69]
	s_add_nc_u64 s[68:69], s[68:69], 4
	s_cbranch_scc0 .LBB7_71
; %bb.72:                               ;   in Loop: Header=BB7_69 Depth=2
	s_add_co_i32 s72, s72, s75
	s_branch .LBB7_68
.LBB7_73:                               ;   in Loop: Header=BB7_4 Depth=1
	v_mov_b32_e32 v4, s73
.LBB7_74:                               ;   in Loop: Header=BB7_4 Depth=1
	s_xor_b32 s3, s3, -1
	s_wait_alu 0xfffe
	s_and_b32 vcc_lo, exec_lo, s3
	s_wait_alu 0xfffe
	s_cbranch_vccz .LBB7_76
; %bb.75:                               ;   in Loop: Header=BB7_4 Depth=1
	global_store_b32 v22, v23, s[8:9]
.LBB7_76:                               ;   in Loop: Header=BB7_4 Depth=1
	s_wait_alu 0xfffe
	s_or_b32 exec_lo, exec_lo, s4
	s_branch .LBB7_3
.LBB7_77:                               ;   in Loop: Header=BB7_4 Depth=1
	s_and_saveexec_b32 s3, s0
	s_cbranch_execz .LBB7_2
; %bb.78:                               ;   in Loop: Header=BB7_4 Depth=1
	s_ashr_i32 s45, s44, 31
	s_and_not1_b32 vcc_lo, exec_lo, s80
	s_lshl_b64 s[50:51], s[44:45], 3
	s_mov_b32 s4, -1
	s_add_nc_u64 s[68:69], s[38:39], s[50:51]
	global_load_b64 v[1:2], v22, s[68:69]
	s_wait_alu 0xfffe
	s_cbranch_vccnz .LBB7_83
; %bb.79:                               ;   in Loop: Header=BB7_4 Depth=1
	global_load_b64 v[5:6], v22, s[14:15]
	s_wait_loadcnt 0x1
	v_add_f64_e64 v[3:4], v[1:2], -s[30:31]
	s_mov_b32 s4, 0
	s_wait_loadcnt 0x0
	s_delay_alu instid0(VALU_DEP_1)
	v_cmp_lt_f64_e32 vcc_lo, v[5:6], v[3:4]
	v_cmp_nlt_f64_e64 s29, v[5:6], v[3:4]
	s_cbranch_vccz .LBB7_81
; %bb.80:                               ;   in Loop: Header=BB7_4 Depth=1
	global_load_b64 v[5:6], v22, s[14:15] offset:8
	s_mov_b32 s4, -1
	s_wait_loadcnt 0x0
	v_cmp_nge_f64_e64 s29, v[5:6], v[3:4]
.LBB7_81:                               ;   in Loop: Header=BB7_4 Depth=1
	s_delay_alu instid0(VALU_DEP_1)
	s_and_not1_b32 vcc_lo, exec_lo, s29
	s_wait_alu 0xfffe
	s_cbranch_vccnz .LBB7_83
; %bb.82:                               ;   in Loop: Header=BB7_4 Depth=1
	s_add_nc_u64 s[68:69], s[16:17], s[48:49]
	s_mov_b32 s4, 0
	global_store_b32 v22, v22, s[68:69]
.LBB7_83:                               ;   in Loop: Header=BB7_4 Depth=1
	s_wait_alu 0xfffe
	s_and_b32 vcc_lo, exec_lo, s4
	s_wait_alu 0xfffe
	s_cbranch_vccz .LBB7_2
; %bb.84:                               ;   in Loop: Header=BB7_4 Depth=1
	s_add_co_i32 s4, s28, 1
	s_add_nc_u64 s[50:51], s[6:7], s[50:51]
	s_wait_alu 0xfffe
	v_mov_b32_e32 v3, s4
	s_lshl_b64 s[44:45], s[44:45], 2
	s_add_nc_u64 s[48:49], s[16:17], s[48:49]
	s_add_nc_u64 s[44:45], s[10:11], s[44:45]
	s_wait_loadcnt 0x0
	s_clause 0x2
	global_store_b64 v22, v[1:2], s[50:51]
	global_store_b32 v22, v23, s[48:49]
	global_store_b32 v22, v3, s[44:45]
	s_branch .LBB7_2
.LBB7_85:
	s_endpgm
	.section	.rodata,"a",@progbits
	.p2align	6, 0x0
	.amdhsa_kernel _ZN9rocsolver6v33100L22stebz_bisection_kernelIdPdEEv15rocblas_erange_iT_T0_iiS5_iiPiPS4_lS6_lS6_lS6_S6_S7_S7_S7_S7_S6_S4_S4_
		.amdhsa_group_segment_fixed_size 6664
		.amdhsa_private_segment_fixed_size 0
		.amdhsa_kernarg_size 176
		.amdhsa_user_sgpr_count 2
		.amdhsa_user_sgpr_dispatch_ptr 0
		.amdhsa_user_sgpr_queue_ptr 0
		.amdhsa_user_sgpr_kernarg_segment_ptr 1
		.amdhsa_user_sgpr_dispatch_id 0
		.amdhsa_user_sgpr_private_segment_size 0
		.amdhsa_wavefront_size32 1
		.amdhsa_uses_dynamic_stack 0
		.amdhsa_enable_private_segment 0
		.amdhsa_system_sgpr_workgroup_id_x 1
		.amdhsa_system_sgpr_workgroup_id_y 1
		.amdhsa_system_sgpr_workgroup_id_z 0
		.amdhsa_system_sgpr_workgroup_info 0
		.amdhsa_system_vgpr_workitem_id 0
		.amdhsa_next_free_vgpr 39
		.amdhsa_next_free_sgpr 91
		.amdhsa_reserve_vcc 1
		.amdhsa_float_round_mode_32 0
		.amdhsa_float_round_mode_16_64 0
		.amdhsa_float_denorm_mode_32 3
		.amdhsa_float_denorm_mode_16_64 3
		.amdhsa_fp16_overflow 0
		.amdhsa_workgroup_processor_mode 1
		.amdhsa_memory_ordered 1
		.amdhsa_forward_progress 1
		.amdhsa_inst_pref_size 48
		.amdhsa_round_robin_scheduling 0
		.amdhsa_exception_fp_ieee_invalid_op 0
		.amdhsa_exception_fp_denorm_src 0
		.amdhsa_exception_fp_ieee_div_zero 0
		.amdhsa_exception_fp_ieee_overflow 0
		.amdhsa_exception_fp_ieee_underflow 0
		.amdhsa_exception_fp_ieee_inexact 0
		.amdhsa_exception_int_div_zero 0
	.end_amdhsa_kernel
	.section	.text._ZN9rocsolver6v33100L22stebz_bisection_kernelIdPdEEv15rocblas_erange_iT_T0_iiS5_iiPiPS4_lS6_lS6_lS6_S6_S7_S7_S7_S7_S6_S4_S4_,"axG",@progbits,_ZN9rocsolver6v33100L22stebz_bisection_kernelIdPdEEv15rocblas_erange_iT_T0_iiS5_iiPiPS4_lS6_lS6_lS6_S6_S7_S7_S7_S7_S6_S4_S4_,comdat
.Lfunc_end7:
	.size	_ZN9rocsolver6v33100L22stebz_bisection_kernelIdPdEEv15rocblas_erange_iT_T0_iiS5_iiPiPS4_lS6_lS6_lS6_S6_S7_S7_S7_S7_S6_S4_S4_, .Lfunc_end7-_ZN9rocsolver6v33100L22stebz_bisection_kernelIdPdEEv15rocblas_erange_iT_T0_iiS5_iiPiPS4_lS6_lS6_lS6_S6_S7_S7_S7_S7_S6_S4_S4_
                                        ; -- End function
	.set _ZN9rocsolver6v33100L22stebz_bisection_kernelIdPdEEv15rocblas_erange_iT_T0_iiS5_iiPiPS4_lS6_lS6_lS6_S6_S7_S7_S7_S7_S6_S4_S4_.num_vgpr, 39
	.set _ZN9rocsolver6v33100L22stebz_bisection_kernelIdPdEEv15rocblas_erange_iT_T0_iiS5_iiPiPS4_lS6_lS6_lS6_S6_S7_S7_S7_S7_S6_S4_S4_.num_agpr, 0
	.set _ZN9rocsolver6v33100L22stebz_bisection_kernelIdPdEEv15rocblas_erange_iT_T0_iiS5_iiPiPS4_lS6_lS6_lS6_S6_S7_S7_S7_S7_S6_S4_S4_.numbered_sgpr, 91
	.set _ZN9rocsolver6v33100L22stebz_bisection_kernelIdPdEEv15rocblas_erange_iT_T0_iiS5_iiPiPS4_lS6_lS6_lS6_S6_S7_S7_S7_S7_S6_S4_S4_.num_named_barrier, 0
	.set _ZN9rocsolver6v33100L22stebz_bisection_kernelIdPdEEv15rocblas_erange_iT_T0_iiS5_iiPiPS4_lS6_lS6_lS6_S6_S7_S7_S7_S7_S6_S4_S4_.private_seg_size, 0
	.set _ZN9rocsolver6v33100L22stebz_bisection_kernelIdPdEEv15rocblas_erange_iT_T0_iiS5_iiPiPS4_lS6_lS6_lS6_S6_S7_S7_S7_S7_S6_S4_S4_.uses_vcc, 1
	.set _ZN9rocsolver6v33100L22stebz_bisection_kernelIdPdEEv15rocblas_erange_iT_T0_iiS5_iiPiPS4_lS6_lS6_lS6_S6_S7_S7_S7_S7_S6_S4_S4_.uses_flat_scratch, 0
	.set _ZN9rocsolver6v33100L22stebz_bisection_kernelIdPdEEv15rocblas_erange_iT_T0_iiS5_iiPiPS4_lS6_lS6_lS6_S6_S7_S7_S7_S7_S6_S4_S4_.has_dyn_sized_stack, 0
	.set _ZN9rocsolver6v33100L22stebz_bisection_kernelIdPdEEv15rocblas_erange_iT_T0_iiS5_iiPiPS4_lS6_lS6_lS6_S6_S7_S7_S7_S7_S6_S4_S4_.has_recursion, 0
	.set _ZN9rocsolver6v33100L22stebz_bisection_kernelIdPdEEv15rocblas_erange_iT_T0_iiS5_iiPiPS4_lS6_lS6_lS6_S6_S7_S7_S7_S7_S6_S4_S4_.has_indirect_call, 0
	.section	.AMDGPU.csdata,"",@progbits
; Kernel info:
; codeLenInByte = 6040
; TotalNumSgprs: 93
; NumVgprs: 39
; ScratchSize: 0
; MemoryBound: 0
; FloatMode: 240
; IeeeMode: 1
; LDSByteSize: 6664 bytes/workgroup (compile time only)
; SGPRBlocks: 0
; VGPRBlocks: 4
; NumSGPRsForWavesPerEU: 93
; NumVGPRsForWavesPerEU: 39
; Occupancy: 16
; WaveLimiterHint : 1
; COMPUTE_PGM_RSRC2:SCRATCH_EN: 0
; COMPUTE_PGM_RSRC2:USER_SGPR: 2
; COMPUTE_PGM_RSRC2:TRAP_HANDLER: 0
; COMPUTE_PGM_RSRC2:TGID_X_EN: 1
; COMPUTE_PGM_RSRC2:TGID_Y_EN: 1
; COMPUTE_PGM_RSRC2:TGID_Z_EN: 0
; COMPUTE_PGM_RSRC2:TIDIG_COMP_CNT: 0
	.section	.text._ZN9rocsolver6v33100L22stebz_synthesis_kernelIdPdEEv15rocblas_erange_15rocblas_eorder_iiiT0_iiPiS6_PT_lS6_lS6_liS6_S8_S8_S8_S8_S6_S7_,"axG",@progbits,_ZN9rocsolver6v33100L22stebz_synthesis_kernelIdPdEEv15rocblas_erange_15rocblas_eorder_iiiT0_iiPiS6_PT_lS6_lS6_liS6_S8_S8_S8_S8_S6_S7_,comdat
	.globl	_ZN9rocsolver6v33100L22stebz_synthesis_kernelIdPdEEv15rocblas_erange_15rocblas_eorder_iiiT0_iiPiS6_PT_lS6_lS6_liS6_S8_S8_S8_S8_S6_S7_ ; -- Begin function _ZN9rocsolver6v33100L22stebz_synthesis_kernelIdPdEEv15rocblas_erange_15rocblas_eorder_iiiT0_iiPiS6_PT_lS6_lS6_liS6_S8_S8_S8_S8_S6_S7_
	.p2align	8
	.type	_ZN9rocsolver6v33100L22stebz_synthesis_kernelIdPdEEv15rocblas_erange_15rocblas_eorder_iiiT0_iiPiS6_PT_lS6_lS6_liS6_S8_S8_S8_S8_S6_S7_,@function
_ZN9rocsolver6v33100L22stebz_synthesis_kernelIdPdEEv15rocblas_erange_15rocblas_eorder_iiiT0_iiPiS6_PT_lS6_lS6_liS6_S8_S8_S8_S8_S6_S7_: ; @_ZN9rocsolver6v33100L22stebz_synthesis_kernelIdPdEEv15rocblas_erange_15rocblas_eorder_iiiT0_iiPiS6_PT_lS6_lS6_liS6_S8_S8_S8_S8_S6_S7_
; %bb.0:
	s_clause 0x1
	s_load_b32 s2, s[0:1], 0xb4
	s_load_b32 s3, s[0:1], 0x68
	s_wait_kmcnt 0x0
	s_and_b32 s2, s2, 0xffff
	s_delay_alu instid0(SALU_CYCLE_1)
	v_mad_co_u64_u32 v[4:5], null, ttmp9, s2, v[0:1]
	s_mov_b32 s2, exec_lo
	v_cmpx_gt_i32_e64 s3, v4
	s_cbranch_execz .LBB8_61
; %bb.1:
	s_load_b512 s[4:19], s[0:1], 0x28
	v_ashrrev_i32_e32 v5, 31, v4
	s_load_b256 s[20:27], s[0:1], 0x70
	s_delay_alu instid0(VALU_DEP_1) | instskip(SKIP_1) | instid1(VALU_DEP_1)
	v_lshlrev_b64_e32 v[0:1], 2, v[4:5]
	s_wait_kmcnt 0x0
	v_add_co_u32 v2, vcc_lo, s6, v0
	s_delay_alu instid0(VALU_DEP_1)
	v_add_co_ci_u32_e64 v3, null, s7, v1, vcc_lo
	v_mul_lo_u32 v10, s11, v4
	v_mul_lo_u32 v11, s10, v5
	;; [unrolled: 1-line block ×3, first 2 shown]
	global_load_b32 v25, v[2:3], off
	s_clause 0x1
	s_load_b128 s[28:31], s[0:1], 0x0
	s_load_b32 s33, s[0:1], 0x10
	v_mad_co_u64_u32 v[2:3], null, s10, v4, 0
	v_mul_lo_u32 v14, s14, v5
	v_mad_co_u64_u32 v[6:7], null, s14, v4, 0
	v_mul_lo_u32 v15, s19, v4
	v_mul_lo_u32 v16, s18, v5
	v_mad_co_u64_u32 v[8:9], null, s18, v4, 0
	v_add3_u32 v3, v3, v11, v10
	v_add3_u32 v7, v7, v14, v13
	s_delay_alu instid0(VALU_DEP_2) | instskip(NEXT) | instid1(VALU_DEP_4)
	v_lshlrev_b64_e32 v[2:3], 3, v[2:3]
	v_add3_u32 v9, v9, v16, v15
	s_delay_alu instid0(VALU_DEP_3)
	v_lshlrev_b64_e32 v[10:11], 2, v[6:7]
	s_wait_kmcnt 0x0
	v_mul_lo_u32 v12, v4, s30
	s_cmp_eq_u32 s28, 0xe9
	v_lshlrev_b64_e32 v[6:7], 2, v[8:9]
	v_add_co_u32 v28, vcc_lo, s8, v2
	s_wait_alu 0xfffd
	v_add_co_ci_u32_e64 v29, null, s9, v3, vcc_lo
	v_add_co_u32 v30, vcc_lo, s12, v10
	v_ashrrev_i32_e32 v13, 31, v12
	s_wait_alu 0xfffd
	v_add_co_ci_u32_e64 v31, null, s13, v11, vcc_lo
	v_add_co_u32 v27, vcc_lo, s16, v6
	s_delay_alu instid0(VALU_DEP_3) | instskip(SKIP_2) | instid1(VALU_DEP_2)
	v_lshlrev_b64_e32 v[8:9], 2, v[12:13]
	s_wait_alu 0xfffd
	v_add_co_ci_u32_e64 v33, null, s17, v7, vcc_lo
	v_add_co_u32 v26, vcc_lo, s20, v8
	s_wait_alu 0xfffd
	s_delay_alu instid0(VALU_DEP_3)
	v_add_co_ci_u32_e64 v32, null, s21, v9, vcc_lo
	s_wait_loadcnt 0x0
	v_cmp_gt_i32_e64 s2, 1, v25
	v_cmp_lt_i32_e32 vcc_lo, 0, v25
	s_cbranch_scc1 .LBB8_12
; %bb.2:
	v_mov_b32_e32 v8, 0
	s_and_saveexec_b32 s14, vcc_lo
	s_cbranch_execz .LBB8_14
; %bb.3:
	v_add_co_u32 v20, vcc_lo, s8, v2
	s_wait_alu 0xfffd
	v_add_co_ci_u32_e64 v21, null, s9, v3, vcc_lo
	v_add_co_u32 v22, vcc_lo, s12, v10
	s_wait_alu 0xfffd
	v_add_co_ci_u32_e64 v23, null, s13, v11, vcc_lo
	v_mov_b32_e32 v8, 0
	s_mov_b32 s7, 0
	s_mov_b32 s15, 0
	s_wait_alu 0xfffe
	s_mov_b32 s6, s7
	s_branch .LBB8_5
.LBB8_4:                                ;   in Loop: Header=BB8_5 Depth=1
	s_wait_alu 0xfffe
	s_or_b32 exec_lo, exec_lo, s10
	s_add_co_i32 s6, s6, 1
	s_wait_alu 0xfffe
	v_cmp_eq_u32_e32 vcc_lo, s6, v25
	s_or_b32 s15, vcc_lo, s15
	s_wait_alu 0xfffe
	s_and_not1_b32 exec_lo, exec_lo, s15
	s_cbranch_execz .LBB8_13
.LBB8_5:                                ; =>This Loop Header: Depth=1
                                        ;     Child Loop BB8_10 Depth 2
	s_wait_alu 0xfffe
	s_cmp_eq_u32 s6, 0
	s_cbranch_scc1 .LBB8_7
; %bb.6:                                ;   in Loop: Header=BB8_5 Depth=1
	s_lshl_b64 s[10:11], s[6:7], 2
	s_wait_alu 0xfffe
	v_add_co_u32 v6, vcc_lo, v27, s10
	s_wait_alu 0xfffd
	v_add_co_ci_u32_e64 v7, null, s11, v33, vcc_lo
	s_mov_b64 s[10:11], s[6:7]
	global_load_b32 v12, v[6:7], off offset:-4
	s_branch .LBB8_8
.LBB8_7:                                ;   in Loop: Header=BB8_5 Depth=1
	v_mov_b32_e32 v12, 0
	s_mov_b64 s[10:11], 0
.LBB8_8:                                ;   in Loop: Header=BB8_5 Depth=1
	s_wait_alu 0xfffe
	s_lshl_b64 s[10:11], s[10:11], 2
	s_wait_alu 0xfffe
	v_add_co_u32 v6, vcc_lo, v26, s10
	s_wait_alu 0xfffd
	v_add_co_ci_u32_e64 v7, null, s11, v32, vcc_lo
	s_mov_b32 s10, exec_lo
	global_load_b32 v9, v[6:7], off
	s_wait_loadcnt 0x0
	v_cmpx_lt_i32_e32 0, v9
	s_cbranch_execz .LBB8_4
; %bb.9:                                ;   in Loop: Header=BB8_5 Depth=1
	v_ashrrev_i32_e32 v13, 31, v12
	v_ashrrev_i32_e32 v9, 31, v8
	s_mov_b32 s11, 0
	s_mov_b32 s16, 0
	s_delay_alu instid0(VALU_DEP_2) | instskip(SKIP_3) | instid1(VALU_DEP_4)
	v_lshlrev_b64_e32 v[14:15], 3, v[12:13]
	v_lshlrev_b64_e32 v[16:17], 2, v[12:13]
	;; [unrolled: 1-line block ×4, first 2 shown]
	v_add_co_u32 v12, vcc_lo, v20, v14
	s_wait_alu 0xfffd
	v_add_co_ci_u32_e64 v13, null, v21, v15, vcc_lo
	v_add_co_u32 v14, vcc_lo, v22, v16
	s_wait_alu 0xfffd
	v_add_co_ci_u32_e64 v15, null, v23, v17, vcc_lo
	;; [unrolled: 3-line block ×4, first 2 shown]
.LBB8_10:                               ;   Parent Loop BB8_5 Depth=1
                                        ; =>  This Inner Loop Header: Depth=2
	global_load_b32 v9, v[14:15], off
	s_wait_alu 0xfffe
	s_add_co_i32 s16, s16, 1
	s_wait_loadcnt 0x0
	global_store_b32 v[18:19], v9, off
	global_load_b32 v24, v[6:7], off
	global_load_b64 v[34:35], v[12:13], off
	v_add_co_u32 v12, vcc_lo, v12, 8
	s_wait_alu 0xfffd
	v_add_co_ci_u32_e64 v13, null, 0, v13, vcc_lo
	v_add_co_u32 v14, vcc_lo, v14, 4
	s_wait_alu 0xfffd
	v_add_co_ci_u32_e64 v15, null, 0, v15, vcc_lo
	v_add_co_u32 v18, s3, v18, 4
	s_wait_alu 0xfffe
	v_add_nc_u32_e32 v9, s16, v8
	s_wait_alu 0xf1ff
	v_add_co_ci_u32_e64 v19, null, 0, v19, s3
	s_wait_loadcnt 0x0
	global_store_b64 v[16:17], v[34:35], off
	v_add_co_u32 v16, vcc_lo, v16, 8
	s_wait_alu 0xfffd
	v_add_co_ci_u32_e64 v17, null, 0, v17, vcc_lo
	v_cmp_ge_i32_e32 vcc_lo, s16, v24
	s_or_b32 s11, vcc_lo, s11
	s_wait_alu 0xfffe
	s_and_not1_b32 exec_lo, exec_lo, s11
	s_cbranch_execnz .LBB8_10
; %bb.11:                               ;   in Loop: Header=BB8_5 Depth=1
	s_or_b32 exec_lo, exec_lo, s11
	v_mov_b32_e32 v8, v9
	s_branch .LBB8_4
.LBB8_12:
                                        ; implicit-def: $vgpr8
	s_branch .LBB8_15
.LBB8_13:
	s_or_b32 exec_lo, exec_lo, s15
.LBB8_14:
	s_wait_alu 0xfffe
	s_or_b32 exec_lo, exec_lo, s14
	s_cbranch_execnz .LBB8_53
.LBB8_15:
	v_lshlrev_b64_e32 v[5:6], 3, v[4:5]
	s_load_b128 s[16:19], s[0:1], 0x90
	v_lshlrev_b32_e32 v12, 1, v4
                                        ; implicit-def: $sgpr6_sgpr7
	s_delay_alu instid0(VALU_DEP_2) | instskip(SKIP_1) | instid1(VALU_DEP_3)
	v_add_co_u32 v5, vcc_lo, s22, v5
	s_wait_alu 0xfffd
	v_add_co_ci_u32_e64 v6, null, s23, v6, vcc_lo
	s_delay_alu instid0(VALU_DEP_3)
	v_mul_lo_u32 v8, v12, s30
	global_load_b64 v[5:6], v[5:6], off
	v_ashrrev_i32_e32 v9, 31, v8
	s_and_saveexec_b32 s3, s2
	s_wait_alu 0xfffe
	s_xor_b32 s2, exec_lo, s3
; %bb.16:
	s_ashr_i32 s7, s30, 31
	s_mov_b32 s6, s30
                                        ; implicit-def: $vgpr25
                                        ; implicit-def: $vgpr26
                                        ; implicit-def: $vgpr32
                                        ; implicit-def: $vgpr27
                                        ; implicit-def: $vgpr33
                                        ; implicit-def: $vgpr10_vgpr11
; %bb.17:
	s_wait_alu 0xfffe
	s_or_saveexec_b32 s20, s2
	v_lshlrev_b64_e32 v[13:14], 3, v[8:9]
	v_lshlrev_b64_e32 v[15:16], 2, v[8:9]
	v_mov_b32_e32 v9, s7
	v_dual_mov_b32 v7, 0 :: v_dual_mov_b32 v8, s6
	s_wait_alu 0xfffe
	s_xor_b32 exec_lo, exec_lo, s20
	s_cbranch_execz .LBB8_28
; %bb.18:
	v_add_co_u32 v34, vcc_lo, s8, v2
	s_wait_alu 0xfffd
	v_add_co_ci_u32_e64 v35, null, s9, v3, vcc_lo
	v_add_co_u32 v36, vcc_lo, s12, v10
	s_wait_alu 0xfffd
	v_add_co_ci_u32_e64 v11, null, s13, v11, vcc_lo
	s_wait_kmcnt 0x0
	v_add_co_u32 v37, vcc_lo, s16, v13
	s_wait_alu 0xfffd
	v_add_co_ci_u32_e64 v38, null, s17, v14, vcc_lo
	v_add_co_u32 v39, vcc_lo, s18, v15
	s_wait_alu 0xfffd
	v_add_co_ci_u32_e64 v40, null, s19, v16, vcc_lo
	v_mov_b32_e32 v7, 0
	s_ashr_i32 s7, s30, 31
	s_mov_b32 s6, s30
	s_mov_b32 s15, 0
	s_wait_alu 0xfffe
	s_lshl_b64 s[10:11], s[6:7], 3
	s_mov_b32 s21, 0
	s_mov_b32 s14, s15
	s_branch .LBB8_20
.LBB8_19:                               ;   in Loop: Header=BB8_20 Depth=1
	s_wait_alu 0xfffe
	s_or_b32 exec_lo, exec_lo, s3
	s_add_co_i32 s14, s14, 1
	s_wait_alu 0xfffe
	v_cmp_eq_u32_e32 vcc_lo, s14, v25
	s_or_b32 s21, vcc_lo, s21
	s_wait_alu 0xfffe
	s_and_not1_b32 exec_lo, exec_lo, s21
	s_cbranch_execz .LBB8_27
.LBB8_20:                               ; =>This Loop Header: Depth=1
                                        ;     Child Loop BB8_25 Depth 2
	s_wait_alu 0xfffe
	s_cmp_eq_u32 s14, 0
	s_cbranch_scc1 .LBB8_22
; %bb.21:                               ;   in Loop: Header=BB8_20 Depth=1
	s_lshl_b64 s[2:3], s[14:15], 2
	s_wait_alu 0xfffe
	v_add_co_u32 v8, vcc_lo, v27, s2
	s_wait_alu 0xfffd
	v_add_co_ci_u32_e64 v9, null, s3, v33, vcc_lo
	s_mov_b64 s[2:3], s[14:15]
	global_load_b32 v17, v[8:9], off offset:-4
	s_branch .LBB8_23
.LBB8_22:                               ;   in Loop: Header=BB8_20 Depth=1
	v_mov_b32_e32 v17, 0
	s_mov_b64 s[2:3], 0
.LBB8_23:                               ;   in Loop: Header=BB8_20 Depth=1
	s_wait_alu 0xfffe
	s_lshl_b64 s[2:3], s[2:3], 2
	s_wait_alu 0xfffe
	v_add_co_u32 v9, vcc_lo, v26, s2
	s_wait_alu 0xfffd
	v_add_co_ci_u32_e64 v10, null, s3, v32, vcc_lo
	s_mov_b32 s3, exec_lo
	global_load_b32 v8, v[9:10], off
	s_wait_loadcnt 0x0
	v_cmpx_lt_i32_e32 0, v8
	s_cbranch_execz .LBB8_19
; %bb.24:                               ;   in Loop: Header=BB8_20 Depth=1
	v_ashrrev_i32_e32 v18, 31, v17
	v_ashrrev_i32_e32 v8, 31, v7
	s_mov_b32 s22, 0
	s_mov_b32 s23, 0
	s_delay_alu instid0(VALU_DEP_2) | instskip(SKIP_3) | instid1(VALU_DEP_4)
	v_lshlrev_b64_e32 v[19:20], 3, v[17:18]
	v_lshlrev_b64_e32 v[21:22], 2, v[17:18]
	v_lshlrev_b64_e32 v[23:24], 3, v[7:8]
	v_lshlrev_b64_e32 v[41:42], 2, v[7:8]
	v_add_co_u32 v17, vcc_lo, v34, v19
	s_wait_alu 0xfffd
	v_add_co_ci_u32_e64 v18, null, v35, v20, vcc_lo
	v_add_co_u32 v19, vcc_lo, v36, v21
	s_wait_alu 0xfffd
	v_add_co_ci_u32_e64 v20, null, v11, v22, vcc_lo
	;; [unrolled: 3-line block ×4, first 2 shown]
.LBB8_25:                               ;   Parent Loop BB8_20 Depth=1
                                        ; =>  This Inner Loop Header: Depth=2
	global_load_b32 v8, v[19:20], off
	v_add_co_u32 v43, vcc_lo, v21, s10
	s_wait_alu 0xfffd
	v_add_co_ci_u32_e64 v44, null, s11, v22, vcc_lo
	s_wait_alu 0xfffe
	s_add_co_i32 s23, s23, 1
	s_wait_loadcnt 0x0
	global_store_b32 v[23:24], v8, off
	global_load_b32 v45, v[9:10], off
	global_load_b64 v[41:42], v[17:18], off
	v_add_co_u32 v17, vcc_lo, v17, 8
	s_wait_alu 0xfffd
	v_add_co_ci_u32_e64 v18, null, 0, v18, vcc_lo
	v_add_co_u32 v19, vcc_lo, v19, 4
	s_wait_alu 0xfffd
	v_add_co_ci_u32_e64 v20, null, 0, v20, vcc_lo
	v_add_co_u32 v23, s2, v23, 4
	s_wait_alu 0xfffe
	v_add_nc_u32_e32 v8, s23, v7
	s_wait_alu 0xf1ff
	v_add_co_ci_u32_e64 v24, null, 0, v24, s2
	s_wait_loadcnt 0x0
	global_store_b64 v[21:22], v[41:42], off
	v_add_co_u32 v21, vcc_lo, v21, 8
	s_wait_alu 0xfffd
	v_add_co_ci_u32_e64 v22, null, 0, v22, vcc_lo
	v_cmp_ge_i32_e32 vcc_lo, s23, v45
	global_store_b64 v[43:44], v[41:42], off
	s_or_b32 s22, vcc_lo, s22
	s_wait_alu 0xfffe
	s_and_not1_b32 exec_lo, exec_lo, s22
	s_cbranch_execnz .LBB8_25
; %bb.26:                               ;   in Loop: Header=BB8_20 Depth=1
	s_or_b32 exec_lo, exec_lo, s22
	v_mov_b32_e32 v7, v8
	s_branch .LBB8_19
.LBB8_27:
	s_or_b32 exec_lo, exec_lo, s21
	v_dual_mov_b32 v9, s7 :: v_dual_mov_b32 v8, s6
.LBB8_28:
	s_or_b32 exec_lo, exec_lo, s20
; %bb.29:
	s_delay_alu instid0(VALU_DEP_1)
	v_lshlrev_b64_e32 v[17:18], 3, v[8:9]
	s_wait_kmcnt 0x0
	v_add_co_u32 v32, vcc_lo, s16, v13
	s_wait_alu 0xfffd
	v_add_co_ci_u32_e64 v33, null, s17, v14, vcc_lo
	v_add_co_u32 v34, vcc_lo, s18, v15
	s_wait_alu 0xfffd
	v_add_co_ci_u32_e64 v35, null, s19, v16, vcc_lo
	;; [unrolled: 3-line block ×3, first 2 shown]
	s_mov_b32 s6, 1
	s_mov_b32 s10, exec_lo
	v_cmpx_lt_i32_e32 1, v7
	s_cbranch_execz .LBB8_37
; %bb.30:
	v_lshlrev_b64_e32 v[8:9], 2, v[8:9]
	v_add_co_u32 v13, vcc_lo, v17, v13
	s_wait_alu 0xfffd
	v_add_co_ci_u32_e64 v14, null, v18, v14, vcc_lo
	s_cmp_lg_u64 s[18:19], 0
	v_add_co_u32 v23, vcc_lo, v34, v8
	s_wait_alu 0xfffd
	v_add_co_ci_u32_e64 v24, null, v35, v9, vcc_lo
	v_add_co_u32 v8, vcc_lo, s16, v13
	s_wait_alu 0xfffd
	v_add_co_ci_u32_e64 v9, null, s17, v14, vcc_lo
	s_cselect_b32 s11, -1, 0
	v_add_co_u32 v8, vcc_lo, v8, 8
	s_wait_alu 0xfffd
	v_add_co_ci_u32_e64 v9, null, 0, v9, vcc_lo
	s_mov_b32 s14, 0
	s_branch .LBB8_32
.LBB8_31:                               ;   in Loop: Header=BB8_32 Depth=1
	s_wait_alu 0xfffe
	s_or_b32 exec_lo, exec_lo, s2
	s_add_co_i32 s6, s6, 1
	v_add_co_u32 v8, s2, v8, 8
	s_wait_alu 0xfffe
	v_cmp_eq_u32_e32 vcc_lo, s6, v7
	s_wait_alu 0xf1ff
	v_add_co_ci_u32_e64 v9, null, 0, v9, s2
	s_or_b32 s14, vcc_lo, s14
	s_wait_alu 0xfffe
	s_and_not1_b32 exec_lo, exec_lo, s14
	s_cbranch_execz .LBB8_37
.LBB8_32:                               ; =>This Loop Header: Depth=1
                                        ;     Child Loop BB8_33 Depth 2
	s_wait_alu 0xfffe
	s_ashr_i32 s7, s6, 31
	s_add_co_i32 s15, s6, -1
	s_wait_alu 0xfffe
	s_lshl_b64 s[2:3], s[6:7], 3
	v_dual_mov_b32 v13, s15 :: v_dual_mov_b32 v22, v9
	s_wait_alu 0xfffe
	v_add_co_u32 v15, vcc_lo, v10, s2
	s_wait_alu 0xfffd
	v_add_co_ci_u32_e64 v16, null, s3, v11, vcc_lo
	s_mov_b32 s16, 0
	s_mov_b32 s17, s6
	global_load_b64 v[17:18], v[15:16], off offset:-8
	s_wait_loadcnt 0x0
	v_dual_mov_b32 v21, v8 :: v_dual_mov_b32 v20, v18
	v_mov_b32_e32 v19, v17
.LBB8_33:                               ;   Parent Loop BB8_32 Depth=1
                                        ; =>  This Inner Loop Header: Depth=2
	global_load_b64 v[25:26], v[21:22], off
	v_add_co_u32 v21, s2, v21, 8
	s_wait_alu 0xf1ff
	v_add_co_ci_u32_e64 v22, null, 0, v22, s2
	s_wait_loadcnt 0x0
	v_cmp_lt_f64_e32 vcc_lo, v[25:26], v[19:20]
	s_wait_alu 0xfffc
	v_cndmask_b32_e64 v13, v13, s17, vcc_lo
	s_add_co_i32 s17, s17, 1
	v_dual_cndmask_b32 v20, v20, v26 :: v_dual_cndmask_b32 v19, v19, v25
	s_wait_alu 0xfffe
	v_cmp_eq_u32_e64 s3, s17, v7
	s_or_b32 s16, s3, s16
	s_wait_alu 0xfffe
	s_and_not1_b32 exec_lo, exec_lo, s16
	s_cbranch_execnz .LBB8_33
; %bb.34:                               ;   in Loop: Header=BB8_32 Depth=1
	s_or_b32 exec_lo, exec_lo, s16
	s_delay_alu instid0(SALU_CYCLE_1)
	s_mov_b32 s2, exec_lo
	v_cmpx_ne_u32_e64 s15, v13
	s_cbranch_execz .LBB8_31
; %bb.35:                               ;   in Loop: Header=BB8_32 Depth=1
	v_ashrrev_i32_e32 v14, 31, v13
	s_delay_alu instid0(VALU_DEP_1) | instskip(NEXT) | instid1(VALU_DEP_1)
	v_lshlrev_b64_e32 v[21:22], 3, v[13:14]
	v_add_co_u32 v21, vcc_lo, v10, v21
	s_wait_alu 0xfffd
	s_delay_alu instid0(VALU_DEP_2)
	v_add_co_ci_u32_e64 v22, null, v11, v22, vcc_lo
	s_and_not1_b32 vcc_lo, exec_lo, s11
	s_clause 0x1
	global_store_b64 v[21:22], v[17:18], off
	global_store_b64 v[15:16], v[19:20], off offset:-8
	s_wait_alu 0xfffe
	s_cbranch_vccnz .LBB8_31
; %bb.36:                               ;   in Loop: Header=BB8_32 Depth=1
	v_lshlrev_b64_e32 v[13:14], 2, v[13:14]
	s_lshl_b64 s[16:17], s[6:7], 2
	s_wait_alu 0xfffe
	v_add_co_u32 v15, vcc_lo, v23, s16
	s_wait_alu 0xfffd
	v_add_co_ci_u32_e64 v16, null, s17, v24, vcc_lo
	v_add_co_u32 v13, vcc_lo, v23, v13
	s_wait_alu 0xfffd
	v_add_co_ci_u32_e64 v14, null, v24, v14, vcc_lo
	s_clause 0x1
	global_load_b32 v17, v[15:16], off offset:-4
	global_load_b32 v18, v[13:14], off
	s_wait_loadcnt 0x1
	global_store_b32 v[13:14], v17, off
	s_wait_loadcnt 0x0
	global_store_b32 v[15:16], v18, off offset:-4
	s_branch .LBB8_31
.LBB8_37:
	s_wait_alu 0xfffe
	s_or_b32 exec_lo, exec_lo, s10
	v_mov_b32_e32 v8, 0
	s_mov_b32 s6, exec_lo
	v_cmpx_lt_i32_e32 0, v7
	s_cbranch_execz .LBB8_52
; %bb.38:
	s_load_b128 s[16:19], s[0:1], 0x18
	s_add_co_i32 s1, s30, -1
	v_ashrrev_i32_e32 v13, 31, v12
	s_wait_alu 0xfffe
	v_mul_lo_u32 v8, v4, s1
	v_add_nc_u32_e32 v36, -1, v7
	s_wait_loadcnt 0x0
	v_xor_b32_e32 v38, 0x80000000, v6
	v_lshlrev_b64_e32 v[12:13], 3, v[12:13]
	s_delay_alu instid0(VALU_DEP_4) | instskip(NEXT) | instid1(VALU_DEP_1)
	v_ashrrev_i32_e32 v9, 31, v8
	v_lshlrev_b64_e32 v[8:9], 3, v[8:9]
	s_wait_kmcnt 0x0
	v_mad_co_i64_i32 v[14:15], null, v4, s19, 0
	s_delay_alu instid0(VALU_DEP_4)
	v_add_co_u32 v4, vcc_lo, s26, v12
	s_ashr_i32 s3, s18, 31
	s_mov_b32 s2, s18
	s_wait_alu 0xfffd
	v_add_co_ci_u32_e64 v37, null, s27, v13, vcc_lo
	v_lshlrev_b64_e32 v[14:15], 3, v[14:15]
	v_add_co_u32 v12, vcc_lo, s24, v8
	s_wait_alu 0xfffe
	s_lshl_b64 s[2:3], s[2:3], 3
	s_wait_alu 0xfffd
	v_add_co_ci_u32_e64 v13, null, s25, v9, vcc_lo
	s_wait_alu 0xfffe
	s_add_nc_u64 s[10:11], s[16:17], s[2:3]
	v_add_co_u32 v8, vcc_lo, s16, v14
	s_wait_alu 0xfffd
	v_add_co_ci_u32_e64 v9, null, s17, v15, vcc_lo
	s_wait_alu 0xfffe
	v_add_co_u32 v16, vcc_lo, s10, v14
	s_wait_alu 0xfffd
	v_add_co_ci_u32_e64 v17, null, s11, v15, vcc_lo
	v_add_co_u32 v14, vcc_lo, v8, s2
	s_wait_alu 0xfffd
	v_add_co_ci_u32_e64 v15, null, s3, v9, vcc_lo
	;; [unrolled: 3-line block ×3, first 2 shown]
	v_mov_b32_e32 v8, 0
	s_cmp_gt_i32 s30, 1
	s_mov_b32 s3, 0
	s_cselect_b32 s7, -1, 0
	s_mov_b32 s10, 0
	s_wait_alu 0xfffe
	s_mov_b32 s2, s3
	s_branch .LBB8_41
.LBB8_39:                               ;   in Loop: Header=BB8_41 Depth=1
	s_wait_alu 0xfffe
	s_or_b32 exec_lo, exec_lo, s0
.LBB8_40:                               ;   in Loop: Header=BB8_41 Depth=1
	s_wait_alu 0xfffe
	s_or_b32 exec_lo, exec_lo, s11
	s_add_co_i32 s2, s2, 1
	s_wait_alu 0xfffe
	v_cmp_eq_u32_e32 vcc_lo, s2, v7
	s_or_b32 s10, vcc_lo, s10
	s_wait_alu 0xfffe
	s_and_not1_b32 exec_lo, exec_lo, s10
	s_cbranch_execz .LBB8_51
.LBB8_41:                               ; =>This Loop Header: Depth=1
                                        ;     Child Loop BB8_43 Depth 2
                                        ;     Child Loop BB8_48 Depth 2
	s_wait_alu 0xfffe
	s_lshl_b64 s[14:15], s[2:3], 3
	v_dual_mov_b32 v25, v11 :: v_dual_mov_b32 v24, v10
	s_wait_alu 0xfffe
	v_add_co_u32 v18, vcc_lo, v32, s14
	s_wait_alu 0xfffd
	v_add_co_ci_u32_e64 v19, null, s15, v33, vcc_lo
	s_mov_b32 s11, s3
	s_mov_b32 s17, s3
                                        ; implicit-def: $sgpr14
                                        ; implicit-def: $sgpr16
                                        ; implicit-def: $sgpr15
	global_load_b64 v[18:19], v[18:19], off
	s_branch .LBB8_43
.LBB8_42:                               ;   in Loop: Header=BB8_43 Depth=2
	s_wait_alu 0xfffe
	s_or_b32 exec_lo, exec_lo, s19
	s_delay_alu instid0(SALU_CYCLE_1)
	s_and_b32 s0, exec_lo, s16
	v_mov_b32_e32 v9, s17
	s_wait_alu 0xfffe
	s_or_b32 s11, s0, s11
	s_and_not1_b32 s0, s14, exec_lo
	s_and_b32 s14, s15, exec_lo
	s_mov_b32 s17, s18
	s_wait_alu 0xfffe
	s_or_b32 s14, s0, s14
	s_and_not1_b32 exec_lo, exec_lo, s11
	s_cbranch_execz .LBB8_45
.LBB8_43:                               ;   Parent Loop BB8_41 Depth=1
                                        ; =>  This Inner Loop Header: Depth=2
	global_load_b64 v[20:21], v[24:25], off
	v_dual_mov_b32 v22, v24 :: v_dual_mov_b32 v23, v25
	s_or_b32 s15, s15, exec_lo
	s_or_b32 s16, s16, exec_lo
	s_mov_b32 s19, exec_lo
                                        ; implicit-def: $sgpr18
                                        ; implicit-def: $vgpr24_vgpr25
	s_wait_loadcnt 0x0
	v_cmpx_neq_f64_e32 v[18:19], v[20:21]
	s_cbranch_execz .LBB8_42
; %bb.44:                               ;   in Loop: Header=BB8_43 Depth=2
	s_wait_alu 0xfffe
	s_add_co_i32 s18, s17, 1
	v_add_co_u32 v24, s0, v22, 8
	s_wait_alu 0xfffe
	v_cmp_eq_u32_e32 vcc_lo, s18, v7
	s_wait_alu 0xf1ff
	v_add_co_ci_u32_e64 v25, null, 0, v23, s0
	s_and_not1_b32 s0, s16, exec_lo
	s_and_not1_b32 s15, s15, exec_lo
	s_and_b32 s16, vcc_lo, exec_lo
	s_wait_alu 0xfffe
	s_or_b32 s16, s0, s16
	s_branch .LBB8_42
.LBB8_45:                               ;   in Loop: Header=BB8_41 Depth=1
	s_or_b32 exec_lo, exec_lo, s11
	s_wait_alu 0xfffe
	s_and_saveexec_b32 s0, s14
	s_wait_alu 0xfffe
	s_xor_b32 s11, exec_lo, s0
	s_cbranch_execz .LBB8_40
; %bb.46:                               ;   in Loop: Header=BB8_41 Depth=1
	v_cmp_eq_u32_e32 vcc_lo, v9, v36
	s_wait_alu 0xfffd
	v_dual_cndmask_b32 v23, v23, v37 :: v_dual_cndmask_b32 v22, v22, v4
	s_and_not1_b32 vcc_lo, exec_lo, s7
	global_load_b64 v[22:23], v[22:23], off offset:8
	global_load_b64 v[24:25], v[14:15], off
	s_wait_loadcnt 0x1
	v_add_f64_e64 v[20:21], v[22:23], -v[20:21]
	s_delay_alu instid0(VALU_DEP_1) | instskip(SKIP_1) | instid1(VALU_DEP_1)
	v_fma_f64 v[20:21], v[20:21], 0.5, v[18:19]
	s_wait_loadcnt 0x0
	v_add_f64_e64 v[24:25], v[24:25], -v[20:21]
	s_delay_alu instid0(VALU_DEP_1) | instskip(SKIP_1) | instid1(VALU_DEP_1)
	v_cmp_le_f64_e64 s0, v[24:25], v[5:6]
	s_wait_alu 0xf1ff
	v_cndmask_b32_e64 v9, 0, 1, s0
	s_wait_alu 0xfffe
	s_cbranch_vccnz .LBB8_49
; %bb.47:                               ;   in Loop: Header=BB8_41 Depth=1
	v_cmp_gt_f64_e64 s14, v[24:25], -v[5:6]
	v_dual_mov_b32 v23, v13 :: v_dual_mov_b32 v22, v12
	s_and_b32 vcc_lo, s0, s14
	s_mov_b32 s14, s1
	s_wait_alu 0xfffe
	v_dual_cndmask_b32 v27, v25, v38 :: v_dual_cndmask_b32 v26, v24, v5
	v_dual_mov_b32 v25, v17 :: v_dual_mov_b32 v24, v16
.LBB8_48:                               ;   Parent Loop BB8_41 Depth=1
                                        ; =>  This Inner Loop Header: Depth=2
	global_load_b64 v[39:40], v[22:23], off
	global_load_b64 v[43:44], v[24:25], off
	v_add_co_u32 v24, s0, v24, 8
	s_wait_alu 0xf1ff
	v_add_co_ci_u32_e64 v25, null, 0, v25, s0
	v_add_co_u32 v22, s0, v22, 8
	s_wait_alu 0xf1ff
	v_add_co_ci_u32_e64 v23, null, 0, v23, s0
	s_add_co_i32 s14, s14, -1
	s_wait_loadcnt 0x1
	v_div_scale_f64 v[41:42], null, v[26:27], v[26:27], v[39:40]
	v_div_scale_f64 v[49:50], vcc_lo, v[39:40], v[26:27], v[39:40]
	s_wait_loadcnt 0x0
	v_add_f64_e64 v[43:44], v[43:44], -v[20:21]
	s_delay_alu instid0(VALU_DEP_3) | instskip(NEXT) | instid1(TRANS32_DEP_1)
	v_rcp_f64_e32 v[45:46], v[41:42]
	v_fma_f64 v[47:48], -v[41:42], v[45:46], 1.0
	s_delay_alu instid0(VALU_DEP_1) | instskip(NEXT) | instid1(VALU_DEP_1)
	v_fma_f64 v[45:46], v[45:46], v[47:48], v[45:46]
	v_fma_f64 v[47:48], -v[41:42], v[45:46], 1.0
	s_delay_alu instid0(VALU_DEP_1) | instskip(NEXT) | instid1(VALU_DEP_1)
	v_fma_f64 v[45:46], v[45:46], v[47:48], v[45:46]
	v_mul_f64_e32 v[47:48], v[49:50], v[45:46]
	s_delay_alu instid0(VALU_DEP_1) | instskip(SKIP_1) | instid1(VALU_DEP_1)
	v_fma_f64 v[41:42], -v[41:42], v[47:48], v[49:50]
	s_wait_alu 0xfffd
	v_div_fmas_f64 v[41:42], v[41:42], v[45:46], v[47:48]
	s_delay_alu instid0(VALU_DEP_1) | instskip(NEXT) | instid1(VALU_DEP_1)
	v_div_fixup_f64 v[26:27], v[41:42], v[26:27], v[39:40]
	v_add_f64_e64 v[26:27], v[43:44], -v[26:27]
	s_delay_alu instid0(VALU_DEP_1)
	v_cmp_le_f64_e32 vcc_lo, v[26:27], v[5:6]
	v_cmp_gt_f64_e64 s15, v[26:27], -v[5:6]
	s_wait_alu 0xfffd
	v_add_co_ci_u32_e64 v9, null, 0, v9, vcc_lo
	s_and_b32 vcc_lo, vcc_lo, s15
	s_wait_alu 0xfffe
	s_cmp_lg_u32 s14, 0
	v_dual_cndmask_b32 v27, v27, v38 :: v_dual_cndmask_b32 v26, v26, v5
	s_cbranch_scc1 .LBB8_48
.LBB8_49:                               ;   in Loop: Header=BB8_41 Depth=1
	s_delay_alu instid0(VALU_DEP_1)
	v_cmp_le_i32_e32 vcc_lo, s31, v9
	v_cmp_ge_i32_e64 s0, s33, v9
	s_and_b32 s14, vcc_lo, s0
	s_wait_alu 0xfffe
	s_and_saveexec_b32 s0, s14
	s_cbranch_execz .LBB8_39
; %bb.50:                               ;   in Loop: Header=BB8_41 Depth=1
	s_lshl_b64 s[14:15], s[2:3], 2
	v_ashrrev_i32_e32 v9, 31, v8
	s_wait_alu 0xfffe
	v_add_co_u32 v20, vcc_lo, v34, s14
	s_wait_alu 0xfffd
	v_add_co_ci_u32_e64 v21, null, s15, v35, vcc_lo
	v_lshlrev_b64_e32 v[22:23], 2, v[8:9]
	global_load_b32 v24, v[20:21], off
	v_lshlrev_b64_e32 v[20:21], 3, v[8:9]
	v_add_nc_u32_e32 v8, 1, v8
	s_delay_alu instid0(VALU_DEP_2) | instskip(SKIP_1) | instid1(VALU_DEP_3)
	v_add_co_u32 v20, vcc_lo, v28, v20
	s_wait_alu 0xfffd
	v_add_co_ci_u32_e64 v21, null, v29, v21, vcc_lo
	v_add_co_u32 v22, vcc_lo, v30, v22
	s_wait_alu 0xfffd
	v_add_co_ci_u32_e64 v23, null, v31, v23, vcc_lo
	global_store_b64 v[20:21], v[18:19], off
	s_wait_loadcnt 0x0
	global_store_b32 v[22:23], v24, off
	s_branch .LBB8_39
.LBB8_51:
	s_or_b32 exec_lo, exec_lo, s10
.LBB8_52:
	s_wait_alu 0xfffe
	s_or_b32 exec_lo, exec_lo, s6
.LBB8_53:
	v_add_co_u32 v0, vcc_lo, s4, v0
	s_wait_alu 0xfffd
	v_add_co_ci_u32_e64 v1, null, s5, v1, vcc_lo
	v_cmp_lt_i32_e32 vcc_lo, 1, v8
	s_cmp_eq_u32 s29, 0xf2
	s_mov_b32 s2, 1
	s_cselect_b32 s0, -1, 0
	global_store_b32 v[0:1], v8, off
	s_wait_alu 0xfffe
	s_and_b32 s0, s0, vcc_lo
	s_wait_alu 0xfffe
	s_and_b32 exec_lo, exec_lo, s0
	s_cbranch_execz .LBB8_61
; %bb.54:
	v_add_co_u32 v0, vcc_lo, s8, v2
	s_wait_alu 0xfffd
	v_add_co_ci_u32_e64 v1, null, s9, v3, vcc_lo
	s_cmp_lg_u64 s[12:13], 0
	v_add_co_u32 v0, vcc_lo, v0, 8
	s_wait_alu 0xfffd
	v_add_co_ci_u32_e64 v1, null, 0, v1, vcc_lo
	s_cselect_b32 s4, -1, 0
	s_mov_b32 s5, 0
	s_branch .LBB8_56
.LBB8_55:                               ;   in Loop: Header=BB8_56 Depth=1
	s_wait_alu 0xfffe
	s_or_b32 exec_lo, exec_lo, s0
	s_add_co_i32 s2, s2, 1
	v_add_co_u32 v0, s0, v0, 8
	s_wait_alu 0xfffe
	v_cmp_eq_u32_e32 vcc_lo, s2, v8
	s_wait_alu 0xf1ff
	v_add_co_ci_u32_e64 v1, null, 0, v1, s0
	s_or_b32 s5, vcc_lo, s5
	s_wait_alu 0xfffe
	s_and_not1_b32 exec_lo, exec_lo, s5
	s_cbranch_execz .LBB8_61
.LBB8_56:                               ; =>This Loop Header: Depth=1
                                        ;     Child Loop BB8_57 Depth 2
	s_ashr_i32 s3, s2, 31
	s_add_co_i32 s6, s2, -1
	s_wait_alu 0xfffe
	s_lshl_b64 s[0:1], s[2:3], 3
	v_mov_b32_e32 v2, s6
	s_wait_alu 0xfffe
	v_add_co_u32 v4, vcc_lo, v28, s0
	s_wait_loadcnt 0x0
	s_wait_alu 0xfffd
	v_add_co_ci_u32_e64 v5, null, s1, v29, vcc_lo
	s_mov_b32 s7, 0
	s_mov_b32 s8, s2
	global_load_b64 v[6:7], v[4:5], off offset:-8
	v_dual_mov_b32 v12, v1 :: v_dual_mov_b32 v11, v0
	s_wait_loadcnt 0x0
	v_dual_mov_b32 v10, v7 :: v_dual_mov_b32 v9, v6
.LBB8_57:                               ;   Parent Loop BB8_56 Depth=1
                                        ; =>  This Inner Loop Header: Depth=2
	global_load_b64 v[13:14], v[11:12], off
	v_add_co_u32 v11, s0, v11, 8
	s_wait_alu 0xf1ff
	v_add_co_ci_u32_e64 v12, null, 0, v12, s0
	s_wait_loadcnt 0x0
	v_cmp_lt_f64_e32 vcc_lo, v[13:14], v[9:10]
	s_wait_alu 0xfffc
	v_cndmask_b32_e64 v2, v2, s8, vcc_lo
	s_add_co_i32 s8, s8, 1
	v_dual_cndmask_b32 v10, v10, v14 :: v_dual_cndmask_b32 v9, v9, v13
	s_wait_alu 0xfffe
	v_cmp_eq_u32_e64 s1, s8, v8
	s_or_b32 s7, s1, s7
	s_wait_alu 0xfffe
	s_and_not1_b32 exec_lo, exec_lo, s7
	s_cbranch_execnz .LBB8_57
; %bb.58:                               ;   in Loop: Header=BB8_56 Depth=1
	s_or_b32 exec_lo, exec_lo, s7
	s_delay_alu instid0(SALU_CYCLE_1)
	s_mov_b32 s0, exec_lo
	v_cmpx_ne_u32_e64 s6, v2
	s_cbranch_execz .LBB8_55
; %bb.59:                               ;   in Loop: Header=BB8_56 Depth=1
	v_ashrrev_i32_e32 v3, 31, v2
	s_delay_alu instid0(VALU_DEP_1) | instskip(NEXT) | instid1(VALU_DEP_1)
	v_lshlrev_b64_e32 v[11:12], 3, v[2:3]
	v_add_co_u32 v11, vcc_lo, v28, v11
	s_wait_alu 0xfffd
	s_delay_alu instid0(VALU_DEP_2)
	v_add_co_ci_u32_e64 v12, null, v29, v12, vcc_lo
	s_and_not1_b32 vcc_lo, exec_lo, s4
	s_clause 0x1
	global_store_b64 v[11:12], v[6:7], off
	global_store_b64 v[4:5], v[9:10], off offset:-8
	s_wait_alu 0xfffe
	s_cbranch_vccnz .LBB8_55
; %bb.60:                               ;   in Loop: Header=BB8_56 Depth=1
	v_lshlrev_b64_e32 v[2:3], 2, v[2:3]
	s_lshl_b64 s[6:7], s[2:3], 2
	s_wait_alu 0xfffe
	v_add_co_u32 v4, vcc_lo, v30, s6
	s_wait_alu 0xfffd
	v_add_co_ci_u32_e64 v5, null, s7, v31, vcc_lo
	v_add_co_u32 v2, vcc_lo, v30, v2
	s_wait_alu 0xfffd
	v_add_co_ci_u32_e64 v3, null, v31, v3, vcc_lo
	s_clause 0x1
	global_load_b32 v6, v[4:5], off offset:-4
	global_load_b32 v7, v[2:3], off
	s_wait_loadcnt 0x1
	global_store_b32 v[2:3], v6, off
	s_wait_loadcnt 0x0
	global_store_b32 v[4:5], v7, off offset:-4
	s_branch .LBB8_55
.LBB8_61:
	s_endpgm
	.section	.rodata,"a",@progbits
	.p2align	6, 0x0
	.amdhsa_kernel _ZN9rocsolver6v33100L22stebz_synthesis_kernelIdPdEEv15rocblas_erange_15rocblas_eorder_iiiT0_iiPiS6_PT_lS6_lS6_liS6_S8_S8_S8_S8_S6_S7_
		.amdhsa_group_segment_fixed_size 0
		.amdhsa_private_segment_fixed_size 0
		.amdhsa_kernarg_size 424
		.amdhsa_user_sgpr_count 2
		.amdhsa_user_sgpr_dispatch_ptr 0
		.amdhsa_user_sgpr_queue_ptr 0
		.amdhsa_user_sgpr_kernarg_segment_ptr 1
		.amdhsa_user_sgpr_dispatch_id 0
		.amdhsa_user_sgpr_private_segment_size 0
		.amdhsa_wavefront_size32 1
		.amdhsa_uses_dynamic_stack 0
		.amdhsa_enable_private_segment 0
		.amdhsa_system_sgpr_workgroup_id_x 1
		.amdhsa_system_sgpr_workgroup_id_y 0
		.amdhsa_system_sgpr_workgroup_id_z 0
		.amdhsa_system_sgpr_workgroup_info 0
		.amdhsa_system_vgpr_workitem_id 0
		.amdhsa_next_free_vgpr 51
		.amdhsa_next_free_sgpr 34
		.amdhsa_reserve_vcc 1
		.amdhsa_float_round_mode_32 0
		.amdhsa_float_round_mode_16_64 0
		.amdhsa_float_denorm_mode_32 3
		.amdhsa_float_denorm_mode_16_64 3
		.amdhsa_fp16_overflow 0
		.amdhsa_workgroup_processor_mode 1
		.amdhsa_memory_ordered 1
		.amdhsa_forward_progress 1
		.amdhsa_inst_pref_size 33
		.amdhsa_round_robin_scheduling 0
		.amdhsa_exception_fp_ieee_invalid_op 0
		.amdhsa_exception_fp_denorm_src 0
		.amdhsa_exception_fp_ieee_div_zero 0
		.amdhsa_exception_fp_ieee_overflow 0
		.amdhsa_exception_fp_ieee_underflow 0
		.amdhsa_exception_fp_ieee_inexact 0
		.amdhsa_exception_int_div_zero 0
	.end_amdhsa_kernel
	.section	.text._ZN9rocsolver6v33100L22stebz_synthesis_kernelIdPdEEv15rocblas_erange_15rocblas_eorder_iiiT0_iiPiS6_PT_lS6_lS6_liS6_S8_S8_S8_S8_S6_S7_,"axG",@progbits,_ZN9rocsolver6v33100L22stebz_synthesis_kernelIdPdEEv15rocblas_erange_15rocblas_eorder_iiiT0_iiPiS6_PT_lS6_lS6_liS6_S8_S8_S8_S8_S6_S7_,comdat
.Lfunc_end8:
	.size	_ZN9rocsolver6v33100L22stebz_synthesis_kernelIdPdEEv15rocblas_erange_15rocblas_eorder_iiiT0_iiPiS6_PT_lS6_lS6_liS6_S8_S8_S8_S8_S6_S7_, .Lfunc_end8-_ZN9rocsolver6v33100L22stebz_synthesis_kernelIdPdEEv15rocblas_erange_15rocblas_eorder_iiiT0_iiPiS6_PT_lS6_lS6_liS6_S8_S8_S8_S8_S6_S7_
                                        ; -- End function
	.set _ZN9rocsolver6v33100L22stebz_synthesis_kernelIdPdEEv15rocblas_erange_15rocblas_eorder_iiiT0_iiPiS6_PT_lS6_lS6_liS6_S8_S8_S8_S8_S6_S7_.num_vgpr, 51
	.set _ZN9rocsolver6v33100L22stebz_synthesis_kernelIdPdEEv15rocblas_erange_15rocblas_eorder_iiiT0_iiPiS6_PT_lS6_lS6_liS6_S8_S8_S8_S8_S6_S7_.num_agpr, 0
	.set _ZN9rocsolver6v33100L22stebz_synthesis_kernelIdPdEEv15rocblas_erange_15rocblas_eorder_iiiT0_iiPiS6_PT_lS6_lS6_liS6_S8_S8_S8_S8_S6_S7_.numbered_sgpr, 34
	.set _ZN9rocsolver6v33100L22stebz_synthesis_kernelIdPdEEv15rocblas_erange_15rocblas_eorder_iiiT0_iiPiS6_PT_lS6_lS6_liS6_S8_S8_S8_S8_S6_S7_.num_named_barrier, 0
	.set _ZN9rocsolver6v33100L22stebz_synthesis_kernelIdPdEEv15rocblas_erange_15rocblas_eorder_iiiT0_iiPiS6_PT_lS6_lS6_liS6_S8_S8_S8_S8_S6_S7_.private_seg_size, 0
	.set _ZN9rocsolver6v33100L22stebz_synthesis_kernelIdPdEEv15rocblas_erange_15rocblas_eorder_iiiT0_iiPiS6_PT_lS6_lS6_liS6_S8_S8_S8_S8_S6_S7_.uses_vcc, 1
	.set _ZN9rocsolver6v33100L22stebz_synthesis_kernelIdPdEEv15rocblas_erange_15rocblas_eorder_iiiT0_iiPiS6_PT_lS6_lS6_liS6_S8_S8_S8_S8_S6_S7_.uses_flat_scratch, 0
	.set _ZN9rocsolver6v33100L22stebz_synthesis_kernelIdPdEEv15rocblas_erange_15rocblas_eorder_iiiT0_iiPiS6_PT_lS6_lS6_liS6_S8_S8_S8_S8_S6_S7_.has_dyn_sized_stack, 0
	.set _ZN9rocsolver6v33100L22stebz_synthesis_kernelIdPdEEv15rocblas_erange_15rocblas_eorder_iiiT0_iiPiS6_PT_lS6_lS6_liS6_S8_S8_S8_S8_S6_S7_.has_recursion, 0
	.set _ZN9rocsolver6v33100L22stebz_synthesis_kernelIdPdEEv15rocblas_erange_15rocblas_eorder_iiiT0_iiPiS6_PT_lS6_lS6_liS6_S8_S8_S8_S8_S6_S7_.has_indirect_call, 0
	.section	.AMDGPU.csdata,"",@progbits
; Kernel info:
; codeLenInByte = 4120
; TotalNumSgprs: 36
; NumVgprs: 51
; ScratchSize: 0
; MemoryBound: 0
; FloatMode: 240
; IeeeMode: 1
; LDSByteSize: 0 bytes/workgroup (compile time only)
; SGPRBlocks: 0
; VGPRBlocks: 6
; NumSGPRsForWavesPerEU: 36
; NumVGPRsForWavesPerEU: 51
; Occupancy: 16
; WaveLimiterHint : 1
; COMPUTE_PGM_RSRC2:SCRATCH_EN: 0
; COMPUTE_PGM_RSRC2:USER_SGPR: 2
; COMPUTE_PGM_RSRC2:TRAP_HANDLER: 0
; COMPUTE_PGM_RSRC2:TGID_X_EN: 1
; COMPUTE_PGM_RSRC2:TGID_Y_EN: 0
; COMPUTE_PGM_RSRC2:TGID_Z_EN: 0
; COMPUTE_PGM_RSRC2:TIDIG_COMP_CNT: 0
	.section	.AMDGPU.gpr_maximums,"",@progbits
	.set amdgpu.max_num_vgpr, 0
	.set amdgpu.max_num_agpr, 0
	.set amdgpu.max_num_sgpr, 0
	.section	.AMDGPU.csdata,"",@progbits
	.type	__hip_cuid_f8754305bc7dce79,@object ; @__hip_cuid_f8754305bc7dce79
	.section	.bss,"aw",@nobits
	.globl	__hip_cuid_f8754305bc7dce79
__hip_cuid_f8754305bc7dce79:
	.byte	0                               ; 0x0
	.size	__hip_cuid_f8754305bc7dce79, 1

	.ident	"AMD clang version 22.0.0git (https://github.com/RadeonOpenCompute/llvm-project roc-7.2.4 26084 f58b06dce1f9c15707c5f808fd002e18c2accf7e)"
	.section	".note.GNU-stack","",@progbits
	.addrsig
	.addrsig_sym __hip_cuid_f8754305bc7dce79
	.amdgpu_metadata
---
amdhsa.kernels:
  - .args:
      - .address_space:  global
        .offset:         0
        .size:           8
        .value_kind:     global_buffer
      - .offset:         8
        .size:           4
        .value_kind:     by_value
      - .offset:         12
        .size:           4
        .value_kind:     by_value
      - .offset:         16
        .size:           4
        .value_kind:     by_value
      - .offset:         24
        .size:           4
        .value_kind:     hidden_block_count_x
      - .offset:         28
        .size:           4
        .value_kind:     hidden_block_count_y
      - .offset:         32
        .size:           4
        .value_kind:     hidden_block_count_z
      - .offset:         36
        .size:           2
        .value_kind:     hidden_group_size_x
      - .offset:         38
        .size:           2
        .value_kind:     hidden_group_size_y
      - .offset:         40
        .size:           2
        .value_kind:     hidden_group_size_z
      - .offset:         42
        .size:           2
        .value_kind:     hidden_remainder_x
      - .offset:         44
        .size:           2
        .value_kind:     hidden_remainder_y
      - .offset:         46
        .size:           2
        .value_kind:     hidden_remainder_z
      - .offset:         64
        .size:           8
        .value_kind:     hidden_global_offset_x
      - .offset:         72
        .size:           8
        .value_kind:     hidden_global_offset_y
      - .offset:         80
        .size:           8
        .value_kind:     hidden_global_offset_z
      - .offset:         88
        .size:           2
        .value_kind:     hidden_grid_dims
    .group_segment_fixed_size: 0
    .kernarg_segment_align: 8
    .kernarg_segment_size: 280
    .language:       OpenCL C
    .language_version:
      - 2
      - 0
    .max_flat_workgroup_size: 1024
    .name:           _ZN9rocsolver6v33100L10reset_infoIiiiEEvPT_T0_T1_S4_
    .private_segment_fixed_size: 0
    .sgpr_count:     9
    .sgpr_spill_count: 0
    .symbol:         _ZN9rocsolver6v33100L10reset_infoIiiiEEvPT_T0_T1_S4_.kd
    .uniform_work_group_size: 1
    .uses_dynamic_stack: false
    .vgpr_count:     5
    .vgpr_spill_count: 0
    .wavefront_size: 32
    .workgroup_processor_mode: 1
  - .args:
      - .offset:         0
        .size:           4
        .value_kind:     by_value
      - .offset:         4
        .size:           4
        .value_kind:     by_value
      - .offset:         8
        .size:           4
        .value_kind:     by_value
      - .address_space:  global
        .offset:         16
        .size:           8
        .value_kind:     global_buffer
      - .offset:         24
        .size:           4
        .value_kind:     by_value
      - .offset:         32
        .size:           8
        .value_kind:     by_value
      - .address_space:  global
        .offset:         40
        .size:           8
        .value_kind:     global_buffer
      - .address_space:  global
        .offset:         48
        .size:           8
        .value_kind:     global_buffer
      - .address_space:  global
        .offset:         56
        .size:           8
        .value_kind:     global_buffer
      - .offset:         64
        .size:           8
        .value_kind:     by_value
      - .address_space:  global
        .offset:         72
        .size:           8
        .value_kind:     global_buffer
      - .offset:         80
        .size:           8
        .value_kind:     by_value
      - .address_space:  global
        .offset:         88
        .size:           8
        .value_kind:     global_buffer
      - .offset:         96
        .size:           8
        .value_kind:     by_value
      - .offset:         104
        .size:           4
        .value_kind:     by_value
      - .offset:         112
        .size:           4
        .value_kind:     hidden_block_count_x
      - .offset:         116
        .size:           4
        .value_kind:     hidden_block_count_y
      - .offset:         120
        .size:           4
        .value_kind:     hidden_block_count_z
      - .offset:         124
        .size:           2
        .value_kind:     hidden_group_size_x
      - .offset:         126
        .size:           2
        .value_kind:     hidden_group_size_y
      - .offset:         128
        .size:           2
        .value_kind:     hidden_group_size_z
      - .offset:         130
        .size:           2
        .value_kind:     hidden_remainder_x
      - .offset:         132
        .size:           2
        .value_kind:     hidden_remainder_y
      - .offset:         134
        .size:           2
        .value_kind:     hidden_remainder_z
      - .offset:         152
        .size:           8
        .value_kind:     hidden_global_offset_x
      - .offset:         160
        .size:           8
        .value_kind:     hidden_global_offset_y
      - .offset:         168
        .size:           8
        .value_kind:     hidden_global_offset_z
      - .offset:         176
        .size:           2
        .value_kind:     hidden_grid_dims
    .group_segment_fixed_size: 0
    .kernarg_segment_align: 8
    .kernarg_segment_size: 368
    .language:       OpenCL C
    .language_version:
      - 2
      - 0
    .max_flat_workgroup_size: 1024
    .name:           _ZN9rocsolver6v33100L18stebz_case1_kernelIfPfEEv15rocblas_erange_T_S4_T0_ilPiS6_PS4_lS6_lS6_li
    .private_segment_fixed_size: 0
    .sgpr_count:     25
    .sgpr_spill_count: 0
    .symbol:         _ZN9rocsolver6v33100L18stebz_case1_kernelIfPfEEv15rocblas_erange_T_S4_T0_ilPiS6_PS4_lS6_lS6_li.kd
    .uniform_work_group_size: 1
    .uses_dynamic_stack: false
    .vgpr_count:     11
    .vgpr_spill_count: 0
    .wavefront_size: 32
    .workgroup_processor_mode: 1
  - .args:
      - .offset:         0
        .size:           4
        .value_kind:     by_value
      - .offset:         4
        .size:           4
        .value_kind:     by_value
      - .offset:         8
        .size:           4
        .value_kind:     by_value
      - .offset:         12
        .size:           4
        .value_kind:     by_value
      - .offset:         16
        .size:           4
        .value_kind:     by_value
      - .offset:         20
        .size:           4
        .value_kind:     by_value
      - .address_space:  global
        .offset:         24
        .size:           8
        .value_kind:     global_buffer
      - .offset:         32
        .size:           4
        .value_kind:     by_value
      - .offset:         36
        .size:           4
        .value_kind:     by_value
      - .address_space:  global
        .offset:         40
        .size:           8
        .value_kind:     global_buffer
      - .offset:         48
        .size:           4
        .value_kind:     by_value
      - .offset:         52
        .size:           4
        .value_kind:     by_value
      - .address_space:  global
        .offset:         56
        .size:           8
        .value_kind:     global_buffer
      - .address_space:  global
        .offset:         64
        .size:           8
        .value_kind:     global_buffer
      - .offset:         72
        .size:           8
        .value_kind:     by_value
      - .address_space:  global
        .offset:         80
        .size:           8
        .value_kind:     global_buffer
      - .offset:         88
        .size:           8
        .value_kind:     by_value
      - .address_space:  global
        .offset:         96
        .size:           8
        .value_kind:     global_buffer
      - .address_space:  global
        .offset:         104
        .size:           8
        .value_kind:     global_buffer
      - .address_space:  global
        .offset:         112
        .size:           8
        .value_kind:     global_buffer
      - .address_space:  global
        .offset:         120
        .size:           8
        .value_kind:     global_buffer
      - .address_space:  global
        .offset:         128
        .size:           8
        .value_kind:     global_buffer
      - .address_space:  global
        .offset:         136
        .size:           8
        .value_kind:     global_buffer
      - .offset:         144
        .size:           4
        .value_kind:     by_value
      - .offset:         148
        .size:           4
        .value_kind:     by_value
    .group_segment_fixed_size: 2048
    .kernarg_segment_align: 8
    .kernarg_segment_size: 152
    .language:       OpenCL C
    .language_version:
      - 2
      - 0
    .max_flat_workgroup_size: 256
    .name:           _ZN9rocsolver6v33100L22stebz_splitting_kernelIfPfEEv15rocblas_erange_iT_S4_iiT0_iiS5_iiPiPS4_lS6_lS6_S7_S7_S7_S7_S6_S4_S4_
    .private_segment_fixed_size: 0
    .sgpr_count:     56
    .sgpr_spill_count: 0
    .symbol:         _ZN9rocsolver6v33100L22stebz_splitting_kernelIfPfEEv15rocblas_erange_iT_S4_iiT0_iiS5_iiPiPS4_lS6_lS6_S7_S7_S7_S7_S6_S4_S4_.kd
    .uniform_work_group_size: 1
    .uses_dynamic_stack: false
    .vgpr_count:     20
    .vgpr_spill_count: 0
    .wavefront_size: 32
    .workgroup_processor_mode: 1
  - .args:
      - .offset:         0
        .size:           4
        .value_kind:     by_value
      - .offset:         4
        .size:           4
        .value_kind:     by_value
      - .offset:         8
        .size:           4
        .value_kind:     by_value
      - .address_space:  global
        .offset:         16
        .size:           8
        .value_kind:     global_buffer
      - .offset:         24
        .size:           4
        .value_kind:     by_value
      - .offset:         28
        .size:           4
        .value_kind:     by_value
      - .address_space:  global
        .offset:         32
        .size:           8
        .value_kind:     global_buffer
      - .offset:         40
        .size:           4
        .value_kind:     by_value
      - .offset:         44
        .size:           4
        .value_kind:     by_value
      - .address_space:  global
        .offset:         48
        .size:           8
        .value_kind:     global_buffer
      - .address_space:  global
        .offset:         56
        .size:           8
        .value_kind:     global_buffer
      - .offset:         64
        .size:           8
        .value_kind:     by_value
      - .address_space:  global
        .offset:         72
        .size:           8
        .value_kind:     global_buffer
      - .offset:         80
        .size:           8
        .value_kind:     by_value
      - .address_space:  global
        .offset:         88
        .size:           8
        .value_kind:     global_buffer
      - .offset:         96
        .size:           8
        .value_kind:     by_value
      - .address_space:  global
        .offset:         104
        .size:           8
        .value_kind:     global_buffer
      - .address_space:  global
        .offset:         112
        .size:           8
        .value_kind:     global_buffer
      - .address_space:  global
        .offset:         120
        .size:           8
        .value_kind:     global_buffer
      - .address_space:  global
        .offset:         128
        .size:           8
        .value_kind:     global_buffer
      - .address_space:  global
        .offset:         136
        .size:           8
        .value_kind:     global_buffer
      - .address_space:  global
        .offset:         144
        .size:           8
        .value_kind:     global_buffer
      - .address_space:  global
        .offset:         152
        .size:           8
        .value_kind:     global_buffer
      - .offset:         160
        .size:           4
        .value_kind:     by_value
      - .offset:         164
        .size:           4
        .value_kind:     by_value
    .group_segment_fixed_size: 4616
    .kernarg_segment_align: 8
    .kernarg_segment_size: 168
    .language:       OpenCL C
    .language_version:
      - 2
      - 0
    .max_flat_workgroup_size: 128
    .name:           _ZN9rocsolver6v33100L22stebz_bisection_kernelIfPfEEv15rocblas_erange_iT_T0_iiS5_iiPiPS4_lS6_lS6_lS6_S6_S7_S7_S7_S7_S6_S4_S4_
    .private_segment_fixed_size: 0
    .sgpr_count:     75
    .sgpr_spill_count: 0
    .symbol:         _ZN9rocsolver6v33100L22stebz_bisection_kernelIfPfEEv15rocblas_erange_iT_T0_iiS5_iiPiPS4_lS6_lS6_lS6_S6_S7_S7_S7_S7_S6_S4_S4_.kd
    .uniform_work_group_size: 1
    .uses_dynamic_stack: false
    .vgpr_count:     21
    .vgpr_spill_count: 0
    .wavefront_size: 32
    .workgroup_processor_mode: 1
  - .args:
      - .offset:         0
        .size:           4
        .value_kind:     by_value
      - .offset:         4
        .size:           4
        .value_kind:     by_value
      - .offset:         8
        .size:           4
        .value_kind:     by_value
      - .offset:         12
        .size:           4
        .value_kind:     by_value
      - .offset:         16
        .size:           4
        .value_kind:     by_value
      - .address_space:  global
        .offset:         24
        .size:           8
        .value_kind:     global_buffer
      - .offset:         32
        .size:           4
        .value_kind:     by_value
      - .offset:         36
        .size:           4
        .value_kind:     by_value
      - .address_space:  global
        .offset:         40
        .size:           8
        .value_kind:     global_buffer
      - .address_space:  global
        .offset:         48
        .size:           8
        .value_kind:     global_buffer
      - .address_space:  global
        .offset:         56
        .size:           8
        .value_kind:     global_buffer
      - .offset:         64
        .size:           8
        .value_kind:     by_value
      - .address_space:  global
        .offset:         72
        .size:           8
        .value_kind:     global_buffer
      - .offset:         80
        .size:           8
        .value_kind:     by_value
      - .address_space:  global
        .offset:         88
        .size:           8
        .value_kind:     global_buffer
      - .offset:         96
        .size:           8
        .value_kind:     by_value
      - .offset:         104
        .size:           4
        .value_kind:     by_value
      - .address_space:  global
        .offset:         112
        .size:           8
        .value_kind:     global_buffer
      - .address_space:  global
        .offset:         120
        .size:           8
        .value_kind:     global_buffer
      - .address_space:  global
        .offset:         128
        .size:           8
        .value_kind:     global_buffer
      - .address_space:  global
        .offset:         136
        .size:           8
        .value_kind:     global_buffer
      - .address_space:  global
        .offset:         144
        .size:           8
        .value_kind:     global_buffer
      - .address_space:  global
        .offset:         152
        .size:           8
        .value_kind:     global_buffer
      - .offset:         160
        .size:           4
        .value_kind:     by_value
      - .offset:         168
        .size:           4
        .value_kind:     hidden_block_count_x
      - .offset:         172
        .size:           4
        .value_kind:     hidden_block_count_y
      - .offset:         176
        .size:           4
        .value_kind:     hidden_block_count_z
      - .offset:         180
        .size:           2
        .value_kind:     hidden_group_size_x
      - .offset:         182
        .size:           2
        .value_kind:     hidden_group_size_y
      - .offset:         184
        .size:           2
        .value_kind:     hidden_group_size_z
      - .offset:         186
        .size:           2
        .value_kind:     hidden_remainder_x
      - .offset:         188
        .size:           2
        .value_kind:     hidden_remainder_y
      - .offset:         190
        .size:           2
        .value_kind:     hidden_remainder_z
      - .offset:         208
        .size:           8
        .value_kind:     hidden_global_offset_x
      - .offset:         216
        .size:           8
        .value_kind:     hidden_global_offset_y
      - .offset:         224
        .size:           8
        .value_kind:     hidden_global_offset_z
      - .offset:         232
        .size:           2
        .value_kind:     hidden_grid_dims
    .group_segment_fixed_size: 0
    .kernarg_segment_align: 8
    .kernarg_segment_size: 424
    .language:       OpenCL C
    .language_version:
      - 2
      - 0
    .max_flat_workgroup_size: 1024
    .name:           _ZN9rocsolver6v33100L22stebz_synthesis_kernelIfPfEEv15rocblas_erange_15rocblas_eorder_iiiT0_iiPiS6_PT_lS6_lS6_liS6_S8_S8_S8_S8_S6_S7_
    .private_segment_fixed_size: 0
    .sgpr_count:     36
    .sgpr_spill_count: 0
    .symbol:         _ZN9rocsolver6v33100L22stebz_synthesis_kernelIfPfEEv15rocblas_erange_15rocblas_eorder_iiiT0_iiPiS6_PT_lS6_lS6_liS6_S8_S8_S8_S8_S6_S7_.kd
    .uniform_work_group_size: 1
    .uses_dynamic_stack: false
    .vgpr_count:     42
    .vgpr_spill_count: 0
    .wavefront_size: 32
    .workgroup_processor_mode: 1
  - .args:
      - .offset:         0
        .size:           4
        .value_kind:     by_value
      - .offset:         8
        .size:           8
        .value_kind:     by_value
      - .offset:         16
        .size:           8
        .value_kind:     by_value
      - .address_space:  global
        .offset:         24
        .size:           8
        .value_kind:     global_buffer
      - .offset:         32
        .size:           4
        .value_kind:     by_value
      - .offset:         40
        .size:           8
        .value_kind:     by_value
      - .address_space:  global
        .offset:         48
        .size:           8
        .value_kind:     global_buffer
      - .address_space:  global
        .offset:         56
        .size:           8
        .value_kind:     global_buffer
      - .address_space:  global
        .offset:         64
        .size:           8
        .value_kind:     global_buffer
      - .offset:         72
        .size:           8
        .value_kind:     by_value
      - .address_space:  global
        .offset:         80
        .size:           8
        .value_kind:     global_buffer
      - .offset:         88
        .size:           8
        .value_kind:     by_value
      - .address_space:  global
        .offset:         96
        .size:           8
        .value_kind:     global_buffer
      - .offset:         104
        .size:           8
        .value_kind:     by_value
      - .offset:         112
        .size:           4
        .value_kind:     by_value
      - .offset:         120
        .size:           4
        .value_kind:     hidden_block_count_x
      - .offset:         124
        .size:           4
        .value_kind:     hidden_block_count_y
      - .offset:         128
        .size:           4
        .value_kind:     hidden_block_count_z
      - .offset:         132
        .size:           2
        .value_kind:     hidden_group_size_x
      - .offset:         134
        .size:           2
        .value_kind:     hidden_group_size_y
      - .offset:         136
        .size:           2
        .value_kind:     hidden_group_size_z
      - .offset:         138
        .size:           2
        .value_kind:     hidden_remainder_x
      - .offset:         140
        .size:           2
        .value_kind:     hidden_remainder_y
      - .offset:         142
        .size:           2
        .value_kind:     hidden_remainder_z
      - .offset:         160
        .size:           8
        .value_kind:     hidden_global_offset_x
      - .offset:         168
        .size:           8
        .value_kind:     hidden_global_offset_y
      - .offset:         176
        .size:           8
        .value_kind:     hidden_global_offset_z
      - .offset:         184
        .size:           2
        .value_kind:     hidden_grid_dims
    .group_segment_fixed_size: 0
    .kernarg_segment_align: 8
    .kernarg_segment_size: 376
    .language:       OpenCL C
    .language_version:
      - 2
      - 0
    .max_flat_workgroup_size: 1024
    .name:           _ZN9rocsolver6v33100L18stebz_case1_kernelIdPdEEv15rocblas_erange_T_S4_T0_ilPiS6_PS4_lS6_lS6_li
    .private_segment_fixed_size: 0
    .sgpr_count:     26
    .sgpr_spill_count: 0
    .symbol:         _ZN9rocsolver6v33100L18stebz_case1_kernelIdPdEEv15rocblas_erange_T_S4_T0_ilPiS6_PS4_lS6_lS6_li.kd
    .uniform_work_group_size: 1
    .uses_dynamic_stack: false
    .vgpr_count:     12
    .vgpr_spill_count: 0
    .wavefront_size: 32
    .workgroup_processor_mode: 1
  - .args:
      - .offset:         0
        .size:           4
        .value_kind:     by_value
      - .offset:         4
        .size:           4
        .value_kind:     by_value
      - .offset:         8
        .size:           8
        .value_kind:     by_value
      - .offset:         16
        .size:           8
        .value_kind:     by_value
      - .offset:         24
        .size:           4
        .value_kind:     by_value
      - .offset:         28
        .size:           4
        .value_kind:     by_value
      - .address_space:  global
        .offset:         32
        .size:           8
        .value_kind:     global_buffer
      - .offset:         40
        .size:           4
        .value_kind:     by_value
      - .offset:         44
        .size:           4
        .value_kind:     by_value
      - .address_space:  global
        .offset:         48
        .size:           8
        .value_kind:     global_buffer
      - .offset:         56
        .size:           4
        .value_kind:     by_value
      - .offset:         60
        .size:           4
        .value_kind:     by_value
      - .address_space:  global
        .offset:         64
        .size:           8
        .value_kind:     global_buffer
      - .address_space:  global
        .offset:         72
        .size:           8
        .value_kind:     global_buffer
      - .offset:         80
        .size:           8
        .value_kind:     by_value
      - .address_space:  global
        .offset:         88
        .size:           8
        .value_kind:     global_buffer
      - .offset:         96
        .size:           8
        .value_kind:     by_value
      - .address_space:  global
        .offset:         104
        .size:           8
        .value_kind:     global_buffer
      - .address_space:  global
        .offset:         112
        .size:           8
        .value_kind:     global_buffer
      - .address_space:  global
        .offset:         120
        .size:           8
        .value_kind:     global_buffer
      - .address_space:  global
        .offset:         128
        .size:           8
        .value_kind:     global_buffer
      - .address_space:  global
        .offset:         136
        .size:           8
        .value_kind:     global_buffer
      - .address_space:  global
        .offset:         144
        .size:           8
        .value_kind:     global_buffer
      - .offset:         152
        .size:           8
        .value_kind:     by_value
      - .offset:         160
        .size:           8
        .value_kind:     by_value
    .group_segment_fixed_size: 3072
    .kernarg_segment_align: 8
    .kernarg_segment_size: 168
    .language:       OpenCL C
    .language_version:
      - 2
      - 0
    .max_flat_workgroup_size: 256
    .name:           _ZN9rocsolver6v33100L22stebz_splitting_kernelIdPdEEv15rocblas_erange_iT_S4_iiT0_iiS5_iiPiPS4_lS6_lS6_S7_S7_S7_S7_S6_S4_S4_
    .private_segment_fixed_size: 0
    .sgpr_count:     58
    .sgpr_spill_count: 0
    .symbol:         _ZN9rocsolver6v33100L22stebz_splitting_kernelIdPdEEv15rocblas_erange_iT_S4_iiT0_iiS5_iiPiPS4_lS6_lS6_S7_S7_S7_S7_S6_S4_S4_.kd
    .uniform_work_group_size: 1
    .uses_dynamic_stack: false
    .vgpr_count:     26
    .vgpr_spill_count: 0
    .wavefront_size: 32
    .workgroup_processor_mode: 1
  - .args:
      - .offset:         0
        .size:           4
        .value_kind:     by_value
      - .offset:         4
        .size:           4
        .value_kind:     by_value
      - .offset:         8
        .size:           8
        .value_kind:     by_value
      - .address_space:  global
        .offset:         16
        .size:           8
        .value_kind:     global_buffer
      - .offset:         24
        .size:           4
        .value_kind:     by_value
      - .offset:         28
        .size:           4
        .value_kind:     by_value
      - .address_space:  global
        .offset:         32
        .size:           8
        .value_kind:     global_buffer
      - .offset:         40
        .size:           4
        .value_kind:     by_value
      - .offset:         44
        .size:           4
        .value_kind:     by_value
      - .address_space:  global
        .offset:         48
        .size:           8
        .value_kind:     global_buffer
      - .address_space:  global
        .offset:         56
        .size:           8
        .value_kind:     global_buffer
      - .offset:         64
        .size:           8
        .value_kind:     by_value
      - .address_space:  global
        .offset:         72
        .size:           8
        .value_kind:     global_buffer
      - .offset:         80
        .size:           8
        .value_kind:     by_value
      - .address_space:  global
        .offset:         88
        .size:           8
        .value_kind:     global_buffer
      - .offset:         96
        .size:           8
        .value_kind:     by_value
      - .address_space:  global
        .offset:         104
        .size:           8
        .value_kind:     global_buffer
      - .address_space:  global
        .offset:         112
        .size:           8
        .value_kind:     global_buffer
      - .address_space:  global
        .offset:         120
        .size:           8
        .value_kind:     global_buffer
      - .address_space:  global
        .offset:         128
        .size:           8
        .value_kind:     global_buffer
      - .address_space:  global
        .offset:         136
        .size:           8
        .value_kind:     global_buffer
      - .address_space:  global
        .offset:         144
        .size:           8
        .value_kind:     global_buffer
      - .address_space:  global
        .offset:         152
        .size:           8
        .value_kind:     global_buffer
      - .offset:         160
        .size:           8
        .value_kind:     by_value
      - .offset:         168
        .size:           8
        .value_kind:     by_value
    .group_segment_fixed_size: 6664
    .kernarg_segment_align: 8
    .kernarg_segment_size: 176
    .language:       OpenCL C
    .language_version:
      - 2
      - 0
    .max_flat_workgroup_size: 128
    .name:           _ZN9rocsolver6v33100L22stebz_bisection_kernelIdPdEEv15rocblas_erange_iT_T0_iiS5_iiPiPS4_lS6_lS6_lS6_S6_S7_S7_S7_S7_S6_S4_S4_
    .private_segment_fixed_size: 0
    .sgpr_count:     93
    .sgpr_spill_count: 0
    .symbol:         _ZN9rocsolver6v33100L22stebz_bisection_kernelIdPdEEv15rocblas_erange_iT_T0_iiS5_iiPiPS4_lS6_lS6_lS6_S6_S7_S7_S7_S7_S6_S4_S4_.kd
    .uniform_work_group_size: 1
    .uses_dynamic_stack: false
    .vgpr_count:     39
    .vgpr_spill_count: 0
    .wavefront_size: 32
    .workgroup_processor_mode: 1
  - .args:
      - .offset:         0
        .size:           4
        .value_kind:     by_value
      - .offset:         4
        .size:           4
        .value_kind:     by_value
      - .offset:         8
        .size:           4
        .value_kind:     by_value
      - .offset:         12
        .size:           4
        .value_kind:     by_value
      - .offset:         16
        .size:           4
        .value_kind:     by_value
      - .address_space:  global
        .offset:         24
        .size:           8
        .value_kind:     global_buffer
      - .offset:         32
        .size:           4
        .value_kind:     by_value
      - .offset:         36
        .size:           4
        .value_kind:     by_value
      - .address_space:  global
        .offset:         40
        .size:           8
        .value_kind:     global_buffer
      - .address_space:  global
        .offset:         48
        .size:           8
        .value_kind:     global_buffer
      - .address_space:  global
        .offset:         56
        .size:           8
        .value_kind:     global_buffer
      - .offset:         64
        .size:           8
        .value_kind:     by_value
      - .address_space:  global
        .offset:         72
        .size:           8
        .value_kind:     global_buffer
      - .offset:         80
        .size:           8
        .value_kind:     by_value
      - .address_space:  global
        .offset:         88
        .size:           8
        .value_kind:     global_buffer
      - .offset:         96
        .size:           8
        .value_kind:     by_value
      - .offset:         104
        .size:           4
        .value_kind:     by_value
      - .address_space:  global
        .offset:         112
        .size:           8
        .value_kind:     global_buffer
      - .address_space:  global
        .offset:         120
        .size:           8
        .value_kind:     global_buffer
      - .address_space:  global
        .offset:         128
        .size:           8
        .value_kind:     global_buffer
      - .address_space:  global
        .offset:         136
        .size:           8
        .value_kind:     global_buffer
      - .address_space:  global
        .offset:         144
        .size:           8
        .value_kind:     global_buffer
      - .address_space:  global
        .offset:         152
        .size:           8
        .value_kind:     global_buffer
      - .offset:         160
        .size:           8
        .value_kind:     by_value
      - .offset:         168
        .size:           4
        .value_kind:     hidden_block_count_x
      - .offset:         172
        .size:           4
        .value_kind:     hidden_block_count_y
      - .offset:         176
        .size:           4
        .value_kind:     hidden_block_count_z
      - .offset:         180
        .size:           2
        .value_kind:     hidden_group_size_x
      - .offset:         182
        .size:           2
        .value_kind:     hidden_group_size_y
      - .offset:         184
        .size:           2
        .value_kind:     hidden_group_size_z
      - .offset:         186
        .size:           2
        .value_kind:     hidden_remainder_x
      - .offset:         188
        .size:           2
        .value_kind:     hidden_remainder_y
      - .offset:         190
        .size:           2
        .value_kind:     hidden_remainder_z
      - .offset:         208
        .size:           8
        .value_kind:     hidden_global_offset_x
      - .offset:         216
        .size:           8
        .value_kind:     hidden_global_offset_y
      - .offset:         224
        .size:           8
        .value_kind:     hidden_global_offset_z
      - .offset:         232
        .size:           2
        .value_kind:     hidden_grid_dims
    .group_segment_fixed_size: 0
    .kernarg_segment_align: 8
    .kernarg_segment_size: 424
    .language:       OpenCL C
    .language_version:
      - 2
      - 0
    .max_flat_workgroup_size: 1024
    .name:           _ZN9rocsolver6v33100L22stebz_synthesis_kernelIdPdEEv15rocblas_erange_15rocblas_eorder_iiiT0_iiPiS6_PT_lS6_lS6_liS6_S8_S8_S8_S8_S6_S7_
    .private_segment_fixed_size: 0
    .sgpr_count:     36
    .sgpr_spill_count: 0
    .symbol:         _ZN9rocsolver6v33100L22stebz_synthesis_kernelIdPdEEv15rocblas_erange_15rocblas_eorder_iiiT0_iiPiS6_PT_lS6_lS6_liS6_S8_S8_S8_S8_S6_S7_.kd
    .uniform_work_group_size: 1
    .uses_dynamic_stack: false
    .vgpr_count:     51
    .vgpr_spill_count: 0
    .wavefront_size: 32
    .workgroup_processor_mode: 1
amdhsa.target:   amdgcn-amd-amdhsa--gfx1201
amdhsa.version:
  - 1
  - 2
...

	.end_amdgpu_metadata
